;; amdgpu-corpus repo=ggml-org/llama.cpp kind=compiled arch=gfx1030 opt=O3
	.amdgcn_target "amdgcn-amd-amdhsa--gfx1030"
	.amdhsa_code_object_version 6
	.section	.text._ZL13im2col_kernelI6__halfEvPKfPT_lllllllllllliiiiii,"axG",@progbits,_ZL13im2col_kernelI6__halfEvPKfPT_lllllllllllliiiiii,comdat
	.globl	_ZL13im2col_kernelI6__halfEvPKfPT_lllllllllllliiiiii ; -- Begin function _ZL13im2col_kernelI6__halfEvPKfPT_lllllllllllliiiiii
	.p2align	8
	.type	_ZL13im2col_kernelI6__halfEvPKfPT_lllllllllllliiiiii,@function
_ZL13im2col_kernelI6__halfEvPKfPT_lllllllllllliiiiii: ; @_ZL13im2col_kernelI6__halfEvPKfPT_lllllllllllliiiiii
; %bb.0:
	s_clause 0x1
	s_load_dword s0, s[4:5], 0x94
	s_load_dwordx2 s[34:35], s[4:5], 0x68
	s_waitcnt lgkmcnt(0)
	s_and_b32 s0, s0, 0xffff
	v_mad_u64_u32 v[0:1], null, s6, s0, v[0:1]
	v_mov_b32_e32 v1, 0
	s_mov_b32 s0, exec_lo
	v_cmpx_gt_i64_e64 s[34:35], v[0:1]
	s_cbranch_execz .LBB0_20
; %bb.1:
	s_load_dwordx8 s[12:19], s[4:5], 0x18
	s_mov_b32 s10, s7
	s_mov_b32 s11, 0
	s_waitcnt lgkmcnt(0)
	v_cmp_le_i64_e64 s0, s[18:19], s[10:11]
	s_and_b32 vcc_lo, exec_lo, s0
	s_cbranch_vccnz .LBB0_20
; %bb.2:
	s_clause 0x1
	s_load_dwordx8 s[20:27], s[4:5], 0x48
	s_load_dwordx2 s[2:3], s[4:5], 0x38
	s_mov_b32 s0, s11
	s_waitcnt lgkmcnt(0)
	s_mov_b32 s1, s27
	s_cmp_lg_u64 s[0:1], 0
	s_cbranch_scc0 .LBB0_21
; %bb.3:
	s_ashr_i32 s6, s27, 31
	s_add_u32 s0, s26, s6
	s_mov_b32 s7, s6
	s_addc_u32 s1, s27, s6
	s_xor_b64 s[28:29], s[0:1], s[6:7]
	v_add_co_u32 v8, s7, v0, 0
	v_cvt_f32_u32_e32 v2, s28
	v_cvt_f32_u32_e32 v3, s29
	s_sub_u32 s9, 0, s28
	s_subb_u32 s30, 0, s29
	v_add_co_ci_u32_e64 v9, null, 0, 0, s7
	v_fmamk_f32 v2, v3, 0x4f800000, v2
	v_rcp_f32_e32 v2, v2
	v_mul_f32_e32 v2, 0x5f7ffffc, v2
	v_mul_f32_e32 v3, 0x2f800000, v2
	v_trunc_f32_e32 v3, v3
	v_fmamk_f32 v2, v3, 0xcf800000, v2
	v_cvt_u32_f32_e32 v3, v3
	v_cvt_u32_f32_e32 v2, v2
	v_readfirstlane_b32 s0, v3
	v_readfirstlane_b32 s1, v2
	s_mul_i32 s31, s9, s0
	s_mul_hi_u32 s36, s9, s1
	s_mul_i32 s33, s30, s1
	s_add_i32 s31, s36, s31
	s_mul_i32 s37, s9, s1
	s_add_i32 s31, s31, s33
	s_mul_hi_u32 s36, s1, s37
	s_mul_i32 s39, s1, s31
	s_mul_hi_u32 s38, s0, s37
	s_mul_i32 s33, s0, s37
	s_mul_hi_u32 s37, s1, s31
	s_add_u32 s36, s36, s39
	s_addc_u32 s37, 0, s37
	s_mul_hi_u32 s40, s0, s31
	s_add_u32 s33, s36, s33
	s_mul_i32 s31, s0, s31
	s_addc_u32 s33, s37, s38
	s_addc_u32 s36, s40, 0
	s_add_u32 s31, s33, s31
	s_addc_u32 s33, 0, s36
	s_add_u32 s1, s1, s31
	s_cselect_b32 s31, -1, 0
	s_mul_hi_u32 s36, s9, s1
	s_cmp_lg_u32 s31, 0
	s_mul_i32 s31, s9, s1
	s_addc_u32 s0, s0, s33
	s_mul_i32 s30, s30, s1
	s_mul_i32 s9, s9, s0
	s_mul_hi_u32 s33, s1, s31
	s_add_i32 s9, s36, s9
	s_mul_hi_u32 s36, s0, s31
	s_add_i32 s9, s9, s30
	s_mul_i32 s30, s0, s31
	s_mul_i32 s38, s1, s9
	s_mul_hi_u32 s37, s1, s9
	s_add_u32 s33, s33, s38
	s_addc_u32 s37, 0, s37
	s_mul_hi_u32 s31, s0, s9
	s_add_u32 s30, s33, s30
	s_mul_i32 s9, s0, s9
	s_addc_u32 s30, s37, s36
	s_addc_u32 s31, s31, 0
	s_add_u32 s9, s30, s9
	s_addc_u32 s30, 0, s31
	s_add_u32 s1, s1, s9
	s_cselect_b32 s9, -1, 0
	v_mul_hi_u32 v10, v8, s1
	s_cmp_lg_u32 s9, 0
	v_mad_u64_u32 v[4:5], null, v9, s1, 0
	s_addc_u32 s0, s0, s30
	v_mad_u64_u32 v[2:3], null, v8, s0, 0
	v_mad_u64_u32 v[6:7], null, v9, s0, 0
	v_add_co_u32 v2, vcc_lo, v10, v2
	v_add_co_ci_u32_e64 v3, null, 0, v3, vcc_lo
	v_add_co_u32 v2, vcc_lo, v2, v4
	v_add_co_ci_u32_e32 v2, vcc_lo, v3, v5, vcc_lo
	v_add_co_ci_u32_e32 v3, vcc_lo, 0, v7, vcc_lo
	v_add_co_u32 v4, vcc_lo, v2, v6
	v_add_co_ci_u32_e64 v5, null, 0, v3, vcc_lo
	v_mul_lo_u32 v6, s29, v4
	v_mad_u64_u32 v[2:3], null, s28, v4, 0
	v_mul_lo_u32 v7, s28, v5
	v_sub_co_u32 v2, vcc_lo, v8, v2
	v_add3_u32 v3, v3, v7, v6
	v_add_co_u32 v7, s0, v4, 2
	v_add_co_ci_u32_e64 v8, null, 0, v5, s0
	v_sub_nc_u32_e32 v6, v9, v3
	v_sub_co_u32 v10, s0, v2, s28
	v_sub_co_ci_u32_e64 v3, null, v9, v3, vcc_lo
	v_subrev_co_ci_u32_e64 v6, null, s29, v6, vcc_lo
	v_cmp_le_u32_e32 vcc_lo, s28, v10
	v_subrev_co_ci_u32_e64 v6, null, 0, v6, s0
	v_cndmask_b32_e64 v9, 0, -1, vcc_lo
	v_cmp_eq_u32_e64 s0, s29, v3
	v_cmp_le_u32_e32 vcc_lo, s29, v6
	v_cndmask_b32_e64 v10, 0, -1, vcc_lo
	v_cmp_le_u32_e32 vcc_lo, s28, v2
	v_cndmask_b32_e64 v2, 0, -1, vcc_lo
	;; [unrolled: 2-line block ×3, first 2 shown]
	v_cmp_eq_u32_e32 vcc_lo, s29, v6
	v_cndmask_b32_e64 v2, v11, v2, s0
	v_cndmask_b32_e32 v6, v10, v9, vcc_lo
	v_add_co_u32 v9, vcc_lo, v4, 1
	v_add_co_ci_u32_e64 v10, null, 0, v5, vcc_lo
	v_cmp_ne_u32_e32 vcc_lo, 0, v6
	v_cndmask_b32_e32 v3, v10, v8, vcc_lo
	v_cndmask_b32_e32 v6, v9, v7, vcc_lo
	v_cmp_ne_u32_e32 vcc_lo, 0, v2
	v_cndmask_b32_e32 v2, v5, v3, vcc_lo
	v_cndmask_b32_e32 v3, v4, v6, vcc_lo
	v_xor_b32_e32 v2, s6, v2
	v_xor_b32_e32 v3, s6, v3
	v_sub_co_u32 v4, vcc_lo, v3, s6
	v_subrev_co_ci_u32_e64 v5, null, s6, v2, vcc_lo
	s_cbranch_execnz .LBB0_5
.LBB0_4:
	v_cvt_f32_u32_e32 v2, s26
	s_sub_i32 s0, 0, s26
	v_rcp_iflag_f32_e32 v2, v2
	v_mul_f32_e32 v2, 0x4f7ffffe, v2
	v_cvt_u32_f32_e32 v2, v2
	v_mul_lo_u32 v3, s0, v2
	v_mul_hi_u32 v3, v2, v3
	v_add_nc_u32_e32 v2, v2, v3
	v_mul_hi_u32 v2, v0, v2
	v_mul_lo_u32 v3, v2, s26
	v_add_nc_u32_e32 v4, 1, v2
	v_sub_nc_u32_e32 v3, v0, v3
	v_subrev_nc_u32_e32 v5, s26, v3
	v_cmp_le_u32_e32 vcc_lo, s26, v3
	v_cndmask_b32_e32 v3, v3, v5, vcc_lo
	v_cndmask_b32_e32 v2, v2, v4, vcc_lo
	v_mov_b32_e32 v5, 0
	v_cmp_le_u32_e32 vcc_lo, s26, v3
	v_add_nc_u32_e32 v4, 1, v2
	v_cndmask_b32_e32 v4, v2, v4, vcc_lo
.LBB0_5:
	v_mul_lo_u32 v6, v5, s26
	v_mul_lo_u32 v7, v4, s27
	v_mad_u64_u32 v[2:3], null, v4, s26, 0
	v_add3_u32 v3, v3, v7, v6
	v_sub_co_u32 v6, vcc_lo, v0, v2
	v_mov_b32_e32 v2, 0
	v_sub_co_ci_u32_e64 v7, null, 0, v3, vcc_lo
	v_or_b32_e32 v3, s3, v7
	v_cmp_ne_u64_e32 vcc_lo, 0, v[2:3]
                                        ; implicit-def: $vgpr2_vgpr3
	s_and_saveexec_b32 s0, vcc_lo
	s_xor_b32 s1, exec_lo, s0
	s_cbranch_execz .LBB0_7
; %bb.6:
	s_ashr_i32 s6, s3, 31
	v_ashrrev_i32_e32 v12, 31, v7
	s_add_u32 s26, s2, s6
	s_mov_b32 s7, s6
	s_addc_u32 s27, s3, s6
	s_xor_b64 s[26:27], s[26:27], s[6:7]
	v_add_co_u32 v8, vcc_lo, v6, v12
	v_cvt_f32_u32_e32 v2, s26
	v_cvt_f32_u32_e32 v3, s27
	s_sub_u32 s9, 0, s26
	s_subb_u32 s28, 0, s27
	v_add_co_ci_u32_e64 v9, null, v7, v12, vcc_lo
	v_fmamk_f32 v2, v3, 0x4f800000, v2
	v_xor_b32_e32 v13, v8, v12
	v_xor_b32_e32 v14, v9, v12
	v_rcp_f32_e32 v2, v2
	v_mul_f32_e32 v2, 0x5f7ffffc, v2
	v_mul_f32_e32 v3, 0x2f800000, v2
	v_trunc_f32_e32 v3, v3
	v_fmamk_f32 v2, v3, 0xcf800000, v2
	v_cvt_u32_f32_e32 v3, v3
	v_cvt_u32_f32_e32 v2, v2
	v_readfirstlane_b32 s0, v3
	v_readfirstlane_b32 s7, v2
	s_mul_i32 s29, s9, s0
	s_mul_hi_u32 s31, s9, s7
	s_mul_i32 s30, s28, s7
	s_add_i32 s29, s31, s29
	s_mul_i32 s33, s9, s7
	s_add_i32 s29, s29, s30
	s_mul_hi_u32 s31, s7, s33
	s_mul_i32 s37, s7, s29
	s_mul_hi_u32 s36, s0, s33
	s_mul_i32 s30, s0, s33
	s_mul_hi_u32 s33, s7, s29
	s_add_u32 s31, s31, s37
	s_addc_u32 s33, 0, s33
	s_mul_hi_u32 s38, s0, s29
	s_add_u32 s30, s31, s30
	s_mul_i32 s29, s0, s29
	s_addc_u32 s30, s33, s36
	s_addc_u32 s31, s38, 0
	s_add_u32 s29, s30, s29
	s_addc_u32 s30, 0, s31
	s_add_u32 s7, s7, s29
	s_cselect_b32 s29, -1, 0
	s_mul_hi_u32 s31, s9, s7
	s_cmp_lg_u32 s29, 0
	s_mul_i32 s29, s9, s7
	s_addc_u32 s0, s0, s30
	s_mul_i32 s28, s28, s7
	s_mul_i32 s9, s9, s0
	s_mul_hi_u32 s30, s7, s29
	s_add_i32 s9, s31, s9
	s_mul_hi_u32 s31, s0, s29
	s_add_i32 s9, s9, s28
	s_mul_i32 s28, s0, s29
	s_mul_i32 s36, s7, s9
	s_mul_hi_u32 s33, s7, s9
	s_add_u32 s30, s30, s36
	s_addc_u32 s33, 0, s33
	s_mul_hi_u32 s29, s0, s9
	s_add_u32 s28, s30, s28
	s_mul_i32 s9, s0, s9
	s_addc_u32 s28, s33, s31
	s_addc_u32 s29, s29, 0
	s_add_u32 s9, s28, s9
	s_addc_u32 s28, 0, s29
	s_add_u32 s7, s7, s9
	s_cselect_b32 s9, -1, 0
	v_mul_hi_u32 v15, v13, s7
	s_cmp_lg_u32 s9, 0
	v_mad_u64_u32 v[8:9], null, v14, s7, 0
	s_addc_u32 s0, s0, s28
	v_mad_u64_u32 v[2:3], null, v13, s0, 0
	v_mad_u64_u32 v[10:11], null, v14, s0, 0
	v_add_co_u32 v2, vcc_lo, v15, v2
	v_add_co_ci_u32_e64 v3, null, 0, v3, vcc_lo
	v_add_co_u32 v2, vcc_lo, v2, v8
	v_add_co_ci_u32_e32 v2, vcc_lo, v3, v9, vcc_lo
	v_add_co_ci_u32_e32 v3, vcc_lo, 0, v11, vcc_lo
	v_add_co_u32 v8, vcc_lo, v2, v10
	v_add_co_ci_u32_e64 v9, null, 0, v3, vcc_lo
	v_mul_lo_u32 v10, s27, v8
	v_mad_u64_u32 v[2:3], null, s26, v8, 0
	v_mul_lo_u32 v11, s26, v9
	v_sub_co_u32 v2, vcc_lo, v13, v2
	v_add3_u32 v3, v3, v11, v10
	v_add_co_u32 v11, s0, v8, 2
	v_add_co_ci_u32_e64 v13, null, 0, v9, s0
	v_sub_nc_u32_e32 v10, v14, v3
	v_sub_co_u32 v15, s0, v2, s26
	v_sub_co_ci_u32_e64 v3, null, v14, v3, vcc_lo
	v_subrev_co_ci_u32_e64 v10, null, s27, v10, vcc_lo
	v_cmp_le_u32_e32 vcc_lo, s26, v15
	v_subrev_co_ci_u32_e64 v10, null, 0, v10, s0
	v_cndmask_b32_e64 v14, 0, -1, vcc_lo
	v_cmp_le_u32_e32 vcc_lo, s27, v10
	v_cndmask_b32_e64 v15, 0, -1, vcc_lo
	v_cmp_le_u32_e32 vcc_lo, s26, v2
	;; [unrolled: 2-line block ×3, first 2 shown]
	v_cndmask_b32_e64 v16, 0, -1, vcc_lo
	v_cmp_eq_u32_e32 vcc_lo, s27, v10
	v_cndmask_b32_e32 v10, v15, v14, vcc_lo
	v_add_co_u32 v14, vcc_lo, v8, 1
	v_add_co_ci_u32_e64 v15, null, 0, v9, vcc_lo
	v_cmp_eq_u32_e32 vcc_lo, s27, v3
	v_cndmask_b32_e32 v2, v16, v2, vcc_lo
	v_cmp_ne_u32_e32 vcc_lo, 0, v10
	v_xor_b32_e32 v10, s6, v12
	v_cmp_ne_u32_e64 s0, 0, v2
	v_cndmask_b32_e32 v2, v14, v11, vcc_lo
	v_cndmask_b32_e32 v3, v15, v13, vcc_lo
	v_cndmask_b32_e64 v2, v8, v2, s0
	v_cndmask_b32_e64 v3, v9, v3, s0
	v_xor_b32_e32 v2, v2, v10
	v_xor_b32_e32 v3, v3, v10
	v_sub_co_u32 v2, vcc_lo, v2, v10
	v_sub_co_ci_u32_e64 v3, null, v3, v10, vcc_lo
.LBB0_7:
	s_andn2_saveexec_b32 s0, s1
	s_cbranch_execz .LBB0_9
; %bb.8:
	v_cvt_f32_u32_e32 v2, s2
	s_sub_i32 s1, 0, s2
	v_rcp_iflag_f32_e32 v2, v2
	v_mul_f32_e32 v2, 0x4f7ffffe, v2
	v_cvt_u32_f32_e32 v2, v2
	v_mul_lo_u32 v3, s1, v2
	v_mul_hi_u32 v3, v2, v3
	v_add_nc_u32_e32 v2, v2, v3
	v_mul_hi_u32 v2, v6, v2
	v_mul_lo_u32 v3, v2, s2
	v_add_nc_u32_e32 v8, 1, v2
	v_sub_nc_u32_e32 v3, v6, v3
	v_subrev_nc_u32_e32 v9, s2, v3
	v_cmp_le_u32_e32 vcc_lo, s2, v3
	v_cndmask_b32_e32 v3, v3, v9, vcc_lo
	v_cndmask_b32_e32 v2, v2, v8, vcc_lo
	v_cmp_le_u32_e32 vcc_lo, s2, v3
	v_add_nc_u32_e32 v8, 1, v2
	v_mov_b32_e32 v3, 0
	v_cndmask_b32_e32 v2, v2, v8, vcc_lo
.LBB0_9:
	s_or_b32 exec_lo, exec_lo, s0
	s_clause 0x1
	s_load_dwordx4 s[28:31], s[4:5], 0x70
	s_load_dwordx2 s[6:7], s[4:5], 0x80
	v_mul_lo_u32 v10, v3, s2
	v_mul_lo_u32 v11, v2, s3
	v_mad_u64_u32 v[8:9], null, v2, s2, 0
	v_mul_lo_u32 v12, v5, s20
	s_load_dwordx4 s[0:3], s[4:5], 0x0
	v_lshlrev_b64 v[0:1], 1, v[0:1]
	s_mov_b32 s4, 0
	s_mov_b32 s9, s4
	v_add3_u32 v5, v9, v11, v10
	v_sub_co_u32 v8, vcc_lo, v6, v8
	v_mul_lo_u32 v9, v4, s21
	v_sub_co_ci_u32_e64 v5, null, v7, v5, vcc_lo
	s_waitcnt lgkmcnt(0)
	s_ashr_i32 s26, s28, 31
	s_ashr_i32 s5, s6, 31
	v_mul_lo_u32 v10, v5, s6
	v_mad_u64_u32 v[5:6], null, v8, s6, 0
	v_mul_lo_u32 v11, v8, s5
	s_ashr_i32 s6, s7, 31
	v_mul_lo_u32 v13, v3, s7
	v_mad_u64_u32 v[7:8], null, v2, s7, 0
	s_ashr_i32 s5, s30, 31
	s_mul_hi_u32 s7, s18, s8
	s_mov_b32 s27, s28
	v_add3_u32 v3, v6, v11, v10
	v_mul_lo_u32 v6, v2, s6
	v_sub_co_u32 v2, vcc_lo, v5, s30
	v_mad_u64_u32 v[4:5], null, v4, s20, 0
	s_mul_i32 s6, s19, s8
	v_subrev_co_ci_u32_e64 v3, null, s5, v3, vcc_lo
	v_add3_u32 v6, v8, v6, v13
	s_ashr_i32 s5, s31, 31
	s_mul_i32 s20, s18, s8
	v_add3_u32 v5, v5, v9, v12
	s_ashr_i32 s28, s29, 31
	s_add_i32 s7, s7, s6
	s_add_u32 s6, s20, s10
	s_addc_u32 s7, s7, 0
	v_lshlrev_b64 v[8:9], 2, v[4:5]
	v_sub_co_u32 v4, vcc_lo, v7, s31
	v_subrev_co_ci_u32_e64 v5, null, s5, v6, vcc_lo
	v_cvt_f32_u32_e32 v6, s16
	s_mul_i32 s7, s34, s7
	s_mul_hi_u32 s20, s34, s6
	v_add_co_u32 v12, vcc_lo, s0, v8
	s_add_i32 s7, s20, s7
	s_mul_i32 s20, s35, s6
	v_rcp_iflag_f32_e32 v6, v6
	s_add_i32 s7, s7, s20
	s_mul_i32 s6, s34, s6
	v_add_co_ci_u32_e64 v13, null, s1, v9, vcc_lo
	s_lshl_b64 s[6:7], s[6:7], 1
	s_mul_i32 s30, s34, 0x1fffe
	s_add_u32 s0, s2, s6
	s_addc_u32 s1, s3, s7
	v_add_co_u32 v0, vcc_lo, s0, v0
	v_add_co_ci_u32_e64 v1, null, s1, v1, vcc_lo
	s_mul_i32 s0, s35, 0x1fffe
	s_mul_hi_u32 s1, s34, 0x1fffe
	v_mul_f32_e32 v6, 0x4f7ffffe, v6
	s_add_i32 s31, s1, s0
	s_mul_i32 s0, s30, s19
	s_mul_hi_u32 s1, s30, s18
	s_mul_i32 s2, s31, s18
	s_add_i32 s0, s1, s0
	v_cmp_gt_i64_e64 s35, s[24:25], s[8:9]
	v_cvt_u32_f32_e32 v14, v6
	s_add_i32 s33, s0, s2
	s_sub_u32 s36, 0, s16
	s_mul_i32 s34, s30, s18
	s_subb_u32 s37, 0, s17
	s_ashr_i32 s2, s17, 31
	s_branch .LBB0_11
.LBB0_10:                               ;   in Loop: Header=BB0_11 Depth=1
	s_add_u32 s10, s10, 0xffff
	s_addc_u32 s11, s11, 0
	v_add_co_u32 v0, vcc_lo, v0, s30
	v_cmp_ge_i64_e64 s0, s[10:11], s[18:19]
	v_add_co_ci_u32_e64 v1, null, s31, v1, vcc_lo
	s_and_b32 vcc_lo, exec_lo, s0
	s_cbranch_vccnz .LBB0_20
.LBB0_11:                               ; =>This Loop Header: Depth=1
                                        ;     Child Loop BB0_14 Depth 2
	s_andn2_b32 vcc_lo, exec_lo, s35
	s_cbranch_vccnz .LBB0_10
; %bb.12:                               ;   in Loop: Header=BB0_11 Depth=1
	v_mad_u64_u32 v[6:7], null, s10, s27, v[2:3]
	s_mul_i32 s0, s11, s27
	s_mul_i32 s1, s10, s26
	v_mov_b32_e32 v9, v1
	v_mov_b32_e32 v8, v0
	s_mov_b64 s[6:7], s[8:9]
	v_add3_u32 v7, s1, s0, v7
	v_cmp_lt_i64_e32 vcc_lo, -1, v[6:7]
	v_cmp_gt_i64_e64 s0, s[12:13], v[6:7]
	v_lshlrev_b64 v[6:7], 2, v[6:7]
	s_and_b32 s38, vcc_lo, s0
	s_branch .LBB0_14
.LBB0_13:                               ;   in Loop: Header=BB0_14 Depth=2
	s_or_b32 exec_lo, exec_lo, s0
	s_add_u32 s6, s6, 0xffff
	s_addc_u32 s7, s7, 0
	global_store_short v[8:9], v15, off
	v_cmp_ge_i64_e64 s0, s[6:7], s[24:25]
	v_add_co_u32 v8, vcc_lo, v8, s34
	v_add_co_ci_u32_e64 v9, null, s33, v9, vcc_lo
	s_and_b32 vcc_lo, exec_lo, s0
	s_cbranch_vccnz .LBB0_10
.LBB0_14:                               ;   Parent Loop BB0_11 Depth=1
                                        ; =>  This Inner Loop Header: Depth=2
	s_or_b64 s[0:1], s[6:7], s[16:17]
	s_mov_b32 s5, s1
	s_cmp_lg_u64 s[4:5], 0
	s_cbranch_scc0 .LBB0_19
; %bb.15:                               ;   in Loop: Header=BB0_14 Depth=2
	s_add_u32 s0, s16, s2
	s_mov_b32 s3, s2
	s_addc_u32 s1, s17, s2
	s_xor_b64 s[0:1], s[0:1], s[2:3]
	v_cvt_f32_u32_e32 v10, s0
	v_cvt_f32_u32_e32 v11, s1
	s_sub_u32 s21, 0, s0
	s_subb_u32 s39, 0, s1
	v_fmac_f32_e32 v10, 0x4f800000, v11
	v_rcp_f32_e32 v10, v10
	v_mul_f32_e32 v10, 0x5f7ffffc, v10
	v_mul_f32_e32 v11, 0x2f800000, v10
	v_trunc_f32_e32 v11, v11
	v_fmac_f32_e32 v10, 0xcf800000, v11
	v_cvt_u32_f32_e32 v11, v11
	v_cvt_u32_f32_e32 v10, v10
	v_readfirstlane_b32 s5, v11
	v_readfirstlane_b32 s20, v10
	s_mul_i32 s40, s21, s5
	s_mul_hi_u32 s42, s21, s20
	s_mul_i32 s41, s39, s20
	s_add_i32 s40, s42, s40
	s_mul_i32 s43, s21, s20
	s_add_i32 s40, s40, s41
	s_mul_hi_u32 s42, s20, s43
	s_mul_i32 s45, s20, s40
	s_mul_hi_u32 s44, s5, s43
	s_mul_i32 s41, s5, s43
	s_mul_hi_u32 s43, s20, s40
	s_add_u32 s42, s42, s45
	s_addc_u32 s43, 0, s43
	s_mul_hi_u32 s46, s5, s40
	s_add_u32 s41, s42, s41
	s_mul_i32 s40, s5, s40
	s_addc_u32 s41, s43, s44
	s_addc_u32 s42, s46, 0
	s_add_u32 s40, s41, s40
	s_addc_u32 s41, 0, s42
	s_add_u32 s20, s20, s40
	s_cselect_b32 s40, -1, 0
	s_mul_hi_u32 s42, s21, s20
	s_cmp_lg_u32 s40, 0
	s_mul_i32 s40, s21, s20
	s_addc_u32 s5, s5, s41
	s_mul_i32 s39, s39, s20
	s_mul_i32 s21, s21, s5
	s_mul_hi_u32 s41, s20, s40
	s_add_i32 s21, s42, s21
	s_mul_hi_u32 s42, s5, s40
	s_add_i32 s21, s21, s39
	s_mul_i32 s39, s5, s40
	s_mul_i32 s44, s20, s21
	s_mul_hi_u32 s43, s20, s21
	s_add_u32 s41, s41, s44
	s_addc_u32 s43, 0, s43
	s_mul_hi_u32 s40, s5, s21
	s_add_u32 s39, s41, s39
	s_mul_i32 s21, s5, s21
	s_addc_u32 s39, s43, s42
	s_addc_u32 s40, s40, 0
	s_add_u32 s21, s39, s21
	s_addc_u32 s39, 0, s40
	s_add_u32 s42, s20, s21
	s_cselect_b32 s20, -1, 0
	s_cmp_lg_u32 s20, 0
	s_addc_u32 s5, s5, s39
	s_ashr_i32 s20, s7, 31
	s_add_u32 s40, s6, s20
	s_mov_b32 s21, s20
	s_addc_u32 s41, s7, s20
	s_xor_b64 s[40:41], s[40:41], s[20:21]
	s_mul_i32 s43, s40, s5
	s_mul_hi_u32 s44, s40, s42
	s_mul_hi_u32 s39, s40, s5
	;; [unrolled: 1-line block ×3, first 2 shown]
	s_mul_i32 s42, s41, s42
	s_add_u32 s43, s44, s43
	s_addc_u32 s39, 0, s39
	s_mul_hi_u32 s45, s41, s5
	s_add_u32 s42, s43, s42
	s_mul_i32 s5, s41, s5
	s_addc_u32 s39, s39, s46
	s_addc_u32 s42, s45, 0
	s_add_u32 s5, s39, s5
	s_addc_u32 s39, 0, s42
	s_mul_hi_u32 s42, s0, s5
	s_mul_i32 s43, s0, s39
	s_mul_i32 s44, s1, s5
	s_add_i32 s42, s42, s43
	s_mul_i32 s43, s0, s5
	s_add_i32 s42, s42, s44
	s_sub_i32 s44, s41, s42
	s_sub_u32 s40, s40, s43
	s_cselect_b32 s43, -1, 0
	s_cmp_lg_u32 s43, 0
	s_subb_u32 s44, s44, s1
	s_sub_u32 s45, s40, s0
	s_cselect_b32 s46, -1, 0
	s_cmp_lg_u32 s46, 0
	s_subb_u32 s44, s44, 0
	s_cmp_ge_u32 s44, s1
	s_cselect_b32 s46, -1, 0
	s_cmp_ge_u32 s45, s0
	s_cselect_b32 s45, -1, 0
	s_cmp_eq_u32 s44, s1
	s_cselect_b32 s44, s45, s46
	s_add_u32 s45, s5, 1
	s_addc_u32 s46, s39, 0
	s_add_u32 s47, s5, 2
	s_addc_u32 s48, s39, 0
	s_cmp_lg_u32 s44, 0
	s_cselect_b32 s44, s47, s45
	s_cselect_b32 s45, s48, s46
	s_cmp_lg_u32 s43, 0
	s_subb_u32 s41, s41, s42
	s_cmp_ge_u32 s41, s1
	s_cselect_b32 s42, -1, 0
	s_cmp_ge_u32 s40, s0
	s_cselect_b32 s0, -1, 0
	s_cmp_eq_u32 s41, s1
	s_cselect_b32 s0, s0, s42
	s_cmp_lg_u32 s0, 0
	s_cselect_b32 s1, s45, s39
	s_cselect_b32 s0, s44, s5
	s_xor_b64 s[20:21], s[20:21], s[2:3]
	s_xor_b64 s[0:1], s[0:1], s[20:21]
	s_sub_u32 s20, s0, s20
	s_subb_u32 s21, s1, s21
	s_cbranch_execnz .LBB0_17
.LBB0_16:                               ;   in Loop: Header=BB0_14 Depth=2
	v_readfirstlane_b32 s0, v14
	s_sub_i32 s1, 0, s16
	s_mov_b32 s21, s4
	s_mul_i32 s1, s1, s0
	s_mul_hi_u32 s1, s0, s1
	s_add_i32 s0, s0, s1
	s_mul_hi_u32 s0, s6, s0
	s_mul_i32 s1, s0, s16
	s_add_i32 s3, s0, 1
	s_sub_i32 s1, s6, s1
	s_sub_i32 s5, s1, s16
	s_cmp_ge_u32 s1, s16
	s_cselect_b32 s0, s3, s0
	s_cselect_b32 s1, s5, s1
	s_add_i32 s3, s0, 1
	s_cmp_ge_u32 s1, s16
	s_cselect_b32 s20, s3, s0
.LBB0_17:                               ;   in Loop: Header=BB0_14 Depth=2
	s_mul_i32 s0, s36, s21
	s_mul_hi_u32 s1, s36, s20
	s_mul_i32 s3, s36, s20
	s_add_i32 s0, s1, s0
	s_mul_i32 s1, s37, s20
	v_mov_b32_e32 v15, 0
	s_add_i32 s0, s0, s1
	s_add_u32 s1, s6, s3
	s_addc_u32 s0, s7, s0
	v_mad_u64_u32 v[10:11], null, s1, s29, v[4:5]
	s_mul_i32 s1, s1, s28
	s_mul_i32 s0, s0, s29
	v_add3_u32 v11, s1, s0, v11
	v_cmp_lt_i64_e32 vcc_lo, -1, v[10:11]
	v_cmp_gt_i64_e64 s0, s[14:15], v[10:11]
	s_and_b32 s0, vcc_lo, s0
	s_and_b32 s1, s0, s38
	s_and_saveexec_b32 s0, s1
	s_cbranch_execz .LBB0_13
; %bb.18:                               ;   in Loop: Header=BB0_14 Depth=2
	v_mul_lo_u32 v15, v11, s12
	v_mul_lo_u32 v16, v10, s13
	v_mad_u64_u32 v[10:11], null, v10, s12, 0
	s_mul_i32 s1, s20, s23
	s_mul_hi_u32 s3, s20, s22
	s_mul_i32 s5, s21, s22
	s_add_i32 s1, s3, s1
	s_mul_i32 s20, s20, s22
	s_add_i32 s21, s1, s5
	v_add3_u32 v11, v11, v16, v15
	s_lshl_b64 s[20:21], s[20:21], 2
	v_add_co_u32 v15, vcc_lo, v12, s20
	v_lshlrev_b64 v[10:11], 2, v[10:11]
	v_add_co_ci_u32_e64 v16, null, s21, v13, vcc_lo
	v_add_co_u32 v10, vcc_lo, v15, v10
	v_add_co_ci_u32_e64 v11, null, v16, v11, vcc_lo
	v_add_co_u32 v10, vcc_lo, v10, v6
	v_add_co_ci_u32_e64 v11, null, v11, v7, vcc_lo
	global_load_dword v10, v[10:11], off
	s_waitcnt vmcnt(0)
	v_cvt_f16_f32_e32 v15, v10
	s_branch .LBB0_13
.LBB0_19:                               ;   in Loop: Header=BB0_14 Depth=2
                                        ; implicit-def: $sgpr20_sgpr21
	s_branch .LBB0_16
.LBB0_20:
	s_endpgm
.LBB0_21:
                                        ; implicit-def: $vgpr4_vgpr5
	s_branch .LBB0_4
	.section	.rodata,"a",@progbits
	.p2align	6, 0x0
	.amdhsa_kernel _ZL13im2col_kernelI6__halfEvPKfPT_lllllllllllliiiiii
		.amdhsa_group_segment_fixed_size 0
		.amdhsa_private_segment_fixed_size 0
		.amdhsa_kernarg_size 392
		.amdhsa_user_sgpr_count 6
		.amdhsa_user_sgpr_private_segment_buffer 1
		.amdhsa_user_sgpr_dispatch_ptr 0
		.amdhsa_user_sgpr_queue_ptr 0
		.amdhsa_user_sgpr_kernarg_segment_ptr 1
		.amdhsa_user_sgpr_dispatch_id 0
		.amdhsa_user_sgpr_flat_scratch_init 0
		.amdhsa_user_sgpr_private_segment_size 0
		.amdhsa_wavefront_size32 1
		.amdhsa_uses_dynamic_stack 0
		.amdhsa_system_sgpr_private_segment_wavefront_offset 0
		.amdhsa_system_sgpr_workgroup_id_x 1
		.amdhsa_system_sgpr_workgroup_id_y 1
		.amdhsa_system_sgpr_workgroup_id_z 1
		.amdhsa_system_sgpr_workgroup_info 0
		.amdhsa_system_vgpr_workitem_id 0
		.amdhsa_next_free_vgpr 17
		.amdhsa_next_free_sgpr 49
		.amdhsa_reserve_vcc 1
		.amdhsa_reserve_flat_scratch 0
		.amdhsa_float_round_mode_32 0
		.amdhsa_float_round_mode_16_64 0
		.amdhsa_float_denorm_mode_32 3
		.amdhsa_float_denorm_mode_16_64 3
		.amdhsa_dx10_clamp 1
		.amdhsa_ieee_mode 1
		.amdhsa_fp16_overflow 0
		.amdhsa_workgroup_processor_mode 1
		.amdhsa_memory_ordered 1
		.amdhsa_forward_progress 1
		.amdhsa_shared_vgpr_count 0
		.amdhsa_exception_fp_ieee_invalid_op 0
		.amdhsa_exception_fp_denorm_src 0
		.amdhsa_exception_fp_ieee_div_zero 0
		.amdhsa_exception_fp_ieee_overflow 0
		.amdhsa_exception_fp_ieee_underflow 0
		.amdhsa_exception_fp_ieee_inexact 0
		.amdhsa_exception_int_div_zero 0
	.end_amdhsa_kernel
	.section	.text._ZL13im2col_kernelI6__halfEvPKfPT_lllllllllllliiiiii,"axG",@progbits,_ZL13im2col_kernelI6__halfEvPKfPT_lllllllllllliiiiii,comdat
.Lfunc_end0:
	.size	_ZL13im2col_kernelI6__halfEvPKfPT_lllllllllllliiiiii, .Lfunc_end0-_ZL13im2col_kernelI6__halfEvPKfPT_lllllllllllliiiiii
                                        ; -- End function
	.set _ZL13im2col_kernelI6__halfEvPKfPT_lllllllllllliiiiii.num_vgpr, 17
	.set _ZL13im2col_kernelI6__halfEvPKfPT_lllllllllllliiiiii.num_agpr, 0
	.set _ZL13im2col_kernelI6__halfEvPKfPT_lllllllllllliiiiii.numbered_sgpr, 49
	.set _ZL13im2col_kernelI6__halfEvPKfPT_lllllllllllliiiiii.num_named_barrier, 0
	.set _ZL13im2col_kernelI6__halfEvPKfPT_lllllllllllliiiiii.private_seg_size, 0
	.set _ZL13im2col_kernelI6__halfEvPKfPT_lllllllllllliiiiii.uses_vcc, 1
	.set _ZL13im2col_kernelI6__halfEvPKfPT_lllllllllllliiiiii.uses_flat_scratch, 0
	.set _ZL13im2col_kernelI6__halfEvPKfPT_lllllllllllliiiiii.has_dyn_sized_stack, 0
	.set _ZL13im2col_kernelI6__halfEvPKfPT_lllllllllllliiiiii.has_recursion, 0
	.set _ZL13im2col_kernelI6__halfEvPKfPT_lllllllllllliiiiii.has_indirect_call, 0
	.section	.AMDGPU.csdata,"",@progbits
; Kernel info:
; codeLenInByte = 3132
; TotalNumSgprs: 51
; NumVgprs: 17
; ScratchSize: 0
; MemoryBound: 0
; FloatMode: 240
; IeeeMode: 1
; LDSByteSize: 0 bytes/workgroup (compile time only)
; SGPRBlocks: 0
; VGPRBlocks: 2
; NumSGPRsForWavesPerEU: 51
; NumVGPRsForWavesPerEU: 17
; Occupancy: 16
; WaveLimiterHint : 1
; COMPUTE_PGM_RSRC2:SCRATCH_EN: 0
; COMPUTE_PGM_RSRC2:USER_SGPR: 6
; COMPUTE_PGM_RSRC2:TRAP_HANDLER: 0
; COMPUTE_PGM_RSRC2:TGID_X_EN: 1
; COMPUTE_PGM_RSRC2:TGID_Y_EN: 1
; COMPUTE_PGM_RSRC2:TGID_Z_EN: 1
; COMPUTE_PGM_RSRC2:TIDIG_COMP_CNT: 0
	.section	.text._ZL13im2col_kernelIfEvPKfPT_lllllllllllliiiiii,"axG",@progbits,_ZL13im2col_kernelIfEvPKfPT_lllllllllllliiiiii,comdat
	.globl	_ZL13im2col_kernelIfEvPKfPT_lllllllllllliiiiii ; -- Begin function _ZL13im2col_kernelIfEvPKfPT_lllllllllllliiiiii
	.p2align	8
	.type	_ZL13im2col_kernelIfEvPKfPT_lllllllllllliiiiii,@function
_ZL13im2col_kernelIfEvPKfPT_lllllllllllliiiiii: ; @_ZL13im2col_kernelIfEvPKfPT_lllllllllllliiiiii
; %bb.0:
	s_clause 0x1
	s_load_dword s0, s[4:5], 0x94
	s_load_dwordx2 s[34:35], s[4:5], 0x68
	s_waitcnt lgkmcnt(0)
	s_and_b32 s0, s0, 0xffff
	v_mad_u64_u32 v[0:1], null, s6, s0, v[0:1]
	v_mov_b32_e32 v1, 0
	s_mov_b32 s0, exec_lo
	v_cmpx_gt_i64_e64 s[34:35], v[0:1]
	s_cbranch_execz .LBB1_20
; %bb.1:
	s_load_dwordx8 s[12:19], s[4:5], 0x18
	s_mov_b32 s10, s7
	s_mov_b32 s11, 0
	s_waitcnt lgkmcnt(0)
	v_cmp_le_i64_e64 s0, s[18:19], s[10:11]
	s_and_b32 vcc_lo, exec_lo, s0
	s_cbranch_vccnz .LBB1_20
; %bb.2:
	s_clause 0x1
	s_load_dwordx8 s[20:27], s[4:5], 0x48
	s_load_dwordx2 s[2:3], s[4:5], 0x38
	s_mov_b32 s0, s11
	s_waitcnt lgkmcnt(0)
	s_mov_b32 s1, s27
	s_cmp_lg_u64 s[0:1], 0
	s_cbranch_scc0 .LBB1_21
; %bb.3:
	s_ashr_i32 s6, s27, 31
	s_add_u32 s0, s26, s6
	s_mov_b32 s7, s6
	s_addc_u32 s1, s27, s6
	s_xor_b64 s[28:29], s[0:1], s[6:7]
	v_add_co_u32 v8, s7, v0, 0
	v_cvt_f32_u32_e32 v2, s28
	v_cvt_f32_u32_e32 v3, s29
	s_sub_u32 s9, 0, s28
	s_subb_u32 s30, 0, s29
	v_add_co_ci_u32_e64 v9, null, 0, 0, s7
	v_fmamk_f32 v2, v3, 0x4f800000, v2
	v_rcp_f32_e32 v2, v2
	v_mul_f32_e32 v2, 0x5f7ffffc, v2
	v_mul_f32_e32 v3, 0x2f800000, v2
	v_trunc_f32_e32 v3, v3
	v_fmamk_f32 v2, v3, 0xcf800000, v2
	v_cvt_u32_f32_e32 v3, v3
	v_cvt_u32_f32_e32 v2, v2
	v_readfirstlane_b32 s0, v3
	v_readfirstlane_b32 s1, v2
	s_mul_i32 s31, s9, s0
	s_mul_hi_u32 s36, s9, s1
	s_mul_i32 s33, s30, s1
	s_add_i32 s31, s36, s31
	s_mul_i32 s37, s9, s1
	s_add_i32 s31, s31, s33
	s_mul_hi_u32 s36, s1, s37
	s_mul_i32 s39, s1, s31
	s_mul_hi_u32 s38, s0, s37
	s_mul_i32 s33, s0, s37
	s_mul_hi_u32 s37, s1, s31
	s_add_u32 s36, s36, s39
	s_addc_u32 s37, 0, s37
	s_mul_hi_u32 s40, s0, s31
	s_add_u32 s33, s36, s33
	s_mul_i32 s31, s0, s31
	s_addc_u32 s33, s37, s38
	s_addc_u32 s36, s40, 0
	s_add_u32 s31, s33, s31
	s_addc_u32 s33, 0, s36
	s_add_u32 s1, s1, s31
	s_cselect_b32 s31, -1, 0
	s_mul_hi_u32 s36, s9, s1
	s_cmp_lg_u32 s31, 0
	s_mul_i32 s31, s9, s1
	s_addc_u32 s0, s0, s33
	s_mul_i32 s30, s30, s1
	s_mul_i32 s9, s9, s0
	s_mul_hi_u32 s33, s1, s31
	s_add_i32 s9, s36, s9
	s_mul_hi_u32 s36, s0, s31
	s_add_i32 s9, s9, s30
	s_mul_i32 s30, s0, s31
	s_mul_i32 s38, s1, s9
	s_mul_hi_u32 s37, s1, s9
	s_add_u32 s33, s33, s38
	s_addc_u32 s37, 0, s37
	s_mul_hi_u32 s31, s0, s9
	s_add_u32 s30, s33, s30
	s_mul_i32 s9, s0, s9
	s_addc_u32 s30, s37, s36
	s_addc_u32 s31, s31, 0
	s_add_u32 s9, s30, s9
	s_addc_u32 s30, 0, s31
	s_add_u32 s1, s1, s9
	s_cselect_b32 s9, -1, 0
	v_mul_hi_u32 v10, v8, s1
	s_cmp_lg_u32 s9, 0
	v_mad_u64_u32 v[4:5], null, v9, s1, 0
	s_addc_u32 s0, s0, s30
	v_mad_u64_u32 v[2:3], null, v8, s0, 0
	v_mad_u64_u32 v[6:7], null, v9, s0, 0
	v_add_co_u32 v2, vcc_lo, v10, v2
	v_add_co_ci_u32_e64 v3, null, 0, v3, vcc_lo
	v_add_co_u32 v2, vcc_lo, v2, v4
	v_add_co_ci_u32_e32 v2, vcc_lo, v3, v5, vcc_lo
	v_add_co_ci_u32_e32 v3, vcc_lo, 0, v7, vcc_lo
	v_add_co_u32 v4, vcc_lo, v2, v6
	v_add_co_ci_u32_e64 v5, null, 0, v3, vcc_lo
	v_mul_lo_u32 v6, s29, v4
	v_mad_u64_u32 v[2:3], null, s28, v4, 0
	v_mul_lo_u32 v7, s28, v5
	v_sub_co_u32 v2, vcc_lo, v8, v2
	v_add3_u32 v3, v3, v7, v6
	v_add_co_u32 v7, s0, v4, 2
	v_add_co_ci_u32_e64 v8, null, 0, v5, s0
	v_sub_nc_u32_e32 v6, v9, v3
	v_sub_co_u32 v10, s0, v2, s28
	v_sub_co_ci_u32_e64 v3, null, v9, v3, vcc_lo
	v_subrev_co_ci_u32_e64 v6, null, s29, v6, vcc_lo
	v_cmp_le_u32_e32 vcc_lo, s28, v10
	v_subrev_co_ci_u32_e64 v6, null, 0, v6, s0
	v_cndmask_b32_e64 v9, 0, -1, vcc_lo
	v_cmp_eq_u32_e64 s0, s29, v3
	v_cmp_le_u32_e32 vcc_lo, s29, v6
	v_cndmask_b32_e64 v10, 0, -1, vcc_lo
	v_cmp_le_u32_e32 vcc_lo, s28, v2
	v_cndmask_b32_e64 v2, 0, -1, vcc_lo
	;; [unrolled: 2-line block ×3, first 2 shown]
	v_cmp_eq_u32_e32 vcc_lo, s29, v6
	v_cndmask_b32_e64 v2, v11, v2, s0
	v_cndmask_b32_e32 v6, v10, v9, vcc_lo
	v_add_co_u32 v9, vcc_lo, v4, 1
	v_add_co_ci_u32_e64 v10, null, 0, v5, vcc_lo
	v_cmp_ne_u32_e32 vcc_lo, 0, v6
	v_cndmask_b32_e32 v3, v10, v8, vcc_lo
	v_cndmask_b32_e32 v6, v9, v7, vcc_lo
	v_cmp_ne_u32_e32 vcc_lo, 0, v2
	v_cndmask_b32_e32 v2, v5, v3, vcc_lo
	v_cndmask_b32_e32 v3, v4, v6, vcc_lo
	v_xor_b32_e32 v2, s6, v2
	v_xor_b32_e32 v3, s6, v3
	v_sub_co_u32 v4, vcc_lo, v3, s6
	v_subrev_co_ci_u32_e64 v5, null, s6, v2, vcc_lo
	s_cbranch_execnz .LBB1_5
.LBB1_4:
	v_cvt_f32_u32_e32 v2, s26
	s_sub_i32 s0, 0, s26
	v_rcp_iflag_f32_e32 v2, v2
	v_mul_f32_e32 v2, 0x4f7ffffe, v2
	v_cvt_u32_f32_e32 v2, v2
	v_mul_lo_u32 v3, s0, v2
	v_mul_hi_u32 v3, v2, v3
	v_add_nc_u32_e32 v2, v2, v3
	v_mul_hi_u32 v2, v0, v2
	v_mul_lo_u32 v3, v2, s26
	v_add_nc_u32_e32 v4, 1, v2
	v_sub_nc_u32_e32 v3, v0, v3
	v_subrev_nc_u32_e32 v5, s26, v3
	v_cmp_le_u32_e32 vcc_lo, s26, v3
	v_cndmask_b32_e32 v3, v3, v5, vcc_lo
	v_cndmask_b32_e32 v2, v2, v4, vcc_lo
	v_mov_b32_e32 v5, 0
	v_cmp_le_u32_e32 vcc_lo, s26, v3
	v_add_nc_u32_e32 v4, 1, v2
	v_cndmask_b32_e32 v4, v2, v4, vcc_lo
.LBB1_5:
	v_mul_lo_u32 v6, v5, s26
	v_mul_lo_u32 v7, v4, s27
	v_mad_u64_u32 v[2:3], null, v4, s26, 0
	v_add3_u32 v3, v3, v7, v6
	v_sub_co_u32 v6, vcc_lo, v0, v2
	v_mov_b32_e32 v2, 0
	v_sub_co_ci_u32_e64 v7, null, 0, v3, vcc_lo
	v_or_b32_e32 v3, s3, v7
	v_cmp_ne_u64_e32 vcc_lo, 0, v[2:3]
                                        ; implicit-def: $vgpr2_vgpr3
	s_and_saveexec_b32 s0, vcc_lo
	s_xor_b32 s1, exec_lo, s0
	s_cbranch_execz .LBB1_7
; %bb.6:
	s_ashr_i32 s6, s3, 31
	v_ashrrev_i32_e32 v12, 31, v7
	s_add_u32 s26, s2, s6
	s_mov_b32 s7, s6
	s_addc_u32 s27, s3, s6
	s_xor_b64 s[26:27], s[26:27], s[6:7]
	v_add_co_u32 v8, vcc_lo, v6, v12
	v_cvt_f32_u32_e32 v2, s26
	v_cvt_f32_u32_e32 v3, s27
	s_sub_u32 s9, 0, s26
	s_subb_u32 s28, 0, s27
	v_add_co_ci_u32_e64 v9, null, v7, v12, vcc_lo
	v_fmamk_f32 v2, v3, 0x4f800000, v2
	v_xor_b32_e32 v13, v8, v12
	v_xor_b32_e32 v14, v9, v12
	v_rcp_f32_e32 v2, v2
	v_mul_f32_e32 v2, 0x5f7ffffc, v2
	v_mul_f32_e32 v3, 0x2f800000, v2
	v_trunc_f32_e32 v3, v3
	v_fmamk_f32 v2, v3, 0xcf800000, v2
	v_cvt_u32_f32_e32 v3, v3
	v_cvt_u32_f32_e32 v2, v2
	v_readfirstlane_b32 s0, v3
	v_readfirstlane_b32 s7, v2
	s_mul_i32 s29, s9, s0
	s_mul_hi_u32 s31, s9, s7
	s_mul_i32 s30, s28, s7
	s_add_i32 s29, s31, s29
	s_mul_i32 s33, s9, s7
	s_add_i32 s29, s29, s30
	s_mul_hi_u32 s31, s7, s33
	s_mul_i32 s37, s7, s29
	s_mul_hi_u32 s36, s0, s33
	s_mul_i32 s30, s0, s33
	s_mul_hi_u32 s33, s7, s29
	s_add_u32 s31, s31, s37
	s_addc_u32 s33, 0, s33
	s_mul_hi_u32 s38, s0, s29
	s_add_u32 s30, s31, s30
	s_mul_i32 s29, s0, s29
	s_addc_u32 s30, s33, s36
	s_addc_u32 s31, s38, 0
	s_add_u32 s29, s30, s29
	s_addc_u32 s30, 0, s31
	s_add_u32 s7, s7, s29
	s_cselect_b32 s29, -1, 0
	s_mul_hi_u32 s31, s9, s7
	s_cmp_lg_u32 s29, 0
	s_mul_i32 s29, s9, s7
	s_addc_u32 s0, s0, s30
	s_mul_i32 s28, s28, s7
	s_mul_i32 s9, s9, s0
	s_mul_hi_u32 s30, s7, s29
	s_add_i32 s9, s31, s9
	s_mul_hi_u32 s31, s0, s29
	s_add_i32 s9, s9, s28
	s_mul_i32 s28, s0, s29
	s_mul_i32 s36, s7, s9
	s_mul_hi_u32 s33, s7, s9
	s_add_u32 s30, s30, s36
	s_addc_u32 s33, 0, s33
	s_mul_hi_u32 s29, s0, s9
	s_add_u32 s28, s30, s28
	s_mul_i32 s9, s0, s9
	s_addc_u32 s28, s33, s31
	s_addc_u32 s29, s29, 0
	s_add_u32 s9, s28, s9
	s_addc_u32 s28, 0, s29
	s_add_u32 s7, s7, s9
	s_cselect_b32 s9, -1, 0
	v_mul_hi_u32 v15, v13, s7
	s_cmp_lg_u32 s9, 0
	v_mad_u64_u32 v[8:9], null, v14, s7, 0
	s_addc_u32 s0, s0, s28
	v_mad_u64_u32 v[2:3], null, v13, s0, 0
	v_mad_u64_u32 v[10:11], null, v14, s0, 0
	v_add_co_u32 v2, vcc_lo, v15, v2
	v_add_co_ci_u32_e64 v3, null, 0, v3, vcc_lo
	v_add_co_u32 v2, vcc_lo, v2, v8
	v_add_co_ci_u32_e32 v2, vcc_lo, v3, v9, vcc_lo
	v_add_co_ci_u32_e32 v3, vcc_lo, 0, v11, vcc_lo
	v_add_co_u32 v8, vcc_lo, v2, v10
	v_add_co_ci_u32_e64 v9, null, 0, v3, vcc_lo
	v_mul_lo_u32 v10, s27, v8
	v_mad_u64_u32 v[2:3], null, s26, v8, 0
	v_mul_lo_u32 v11, s26, v9
	v_sub_co_u32 v2, vcc_lo, v13, v2
	v_add3_u32 v3, v3, v11, v10
	v_add_co_u32 v11, s0, v8, 2
	v_add_co_ci_u32_e64 v13, null, 0, v9, s0
	v_sub_nc_u32_e32 v10, v14, v3
	v_sub_co_u32 v15, s0, v2, s26
	v_sub_co_ci_u32_e64 v3, null, v14, v3, vcc_lo
	v_subrev_co_ci_u32_e64 v10, null, s27, v10, vcc_lo
	v_cmp_le_u32_e32 vcc_lo, s26, v15
	v_subrev_co_ci_u32_e64 v10, null, 0, v10, s0
	v_cndmask_b32_e64 v14, 0, -1, vcc_lo
	v_cmp_le_u32_e32 vcc_lo, s27, v10
	v_cndmask_b32_e64 v15, 0, -1, vcc_lo
	v_cmp_le_u32_e32 vcc_lo, s26, v2
	;; [unrolled: 2-line block ×3, first 2 shown]
	v_cndmask_b32_e64 v16, 0, -1, vcc_lo
	v_cmp_eq_u32_e32 vcc_lo, s27, v10
	v_cndmask_b32_e32 v10, v15, v14, vcc_lo
	v_add_co_u32 v14, vcc_lo, v8, 1
	v_add_co_ci_u32_e64 v15, null, 0, v9, vcc_lo
	v_cmp_eq_u32_e32 vcc_lo, s27, v3
	v_cndmask_b32_e32 v2, v16, v2, vcc_lo
	v_cmp_ne_u32_e32 vcc_lo, 0, v10
	v_xor_b32_e32 v10, s6, v12
	v_cmp_ne_u32_e64 s0, 0, v2
	v_cndmask_b32_e32 v2, v14, v11, vcc_lo
	v_cndmask_b32_e32 v3, v15, v13, vcc_lo
	v_cndmask_b32_e64 v2, v8, v2, s0
	v_cndmask_b32_e64 v3, v9, v3, s0
	v_xor_b32_e32 v2, v2, v10
	v_xor_b32_e32 v3, v3, v10
	v_sub_co_u32 v2, vcc_lo, v2, v10
	v_sub_co_ci_u32_e64 v3, null, v3, v10, vcc_lo
.LBB1_7:
	s_andn2_saveexec_b32 s0, s1
	s_cbranch_execz .LBB1_9
; %bb.8:
	v_cvt_f32_u32_e32 v2, s2
	s_sub_i32 s1, 0, s2
	v_rcp_iflag_f32_e32 v2, v2
	v_mul_f32_e32 v2, 0x4f7ffffe, v2
	v_cvt_u32_f32_e32 v2, v2
	v_mul_lo_u32 v3, s1, v2
	v_mul_hi_u32 v3, v2, v3
	v_add_nc_u32_e32 v2, v2, v3
	v_mul_hi_u32 v2, v6, v2
	v_mul_lo_u32 v3, v2, s2
	v_add_nc_u32_e32 v8, 1, v2
	v_sub_nc_u32_e32 v3, v6, v3
	v_subrev_nc_u32_e32 v9, s2, v3
	v_cmp_le_u32_e32 vcc_lo, s2, v3
	v_cndmask_b32_e32 v3, v3, v9, vcc_lo
	v_cndmask_b32_e32 v2, v2, v8, vcc_lo
	v_cmp_le_u32_e32 vcc_lo, s2, v3
	v_add_nc_u32_e32 v8, 1, v2
	v_mov_b32_e32 v3, 0
	v_cndmask_b32_e32 v2, v2, v8, vcc_lo
.LBB1_9:
	s_or_b32 exec_lo, exec_lo, s0
	s_clause 0x1
	s_load_dwordx4 s[28:31], s[4:5], 0x70
	s_load_dwordx2 s[6:7], s[4:5], 0x80
	v_mul_lo_u32 v10, v3, s2
	v_mul_lo_u32 v11, v2, s3
	v_mad_u64_u32 v[8:9], null, v2, s2, 0
	v_mul_lo_u32 v12, v5, s20
	s_load_dwordx4 s[0:3], s[4:5], 0x0
	v_lshlrev_b64 v[0:1], 2, v[0:1]
	s_mov_b32 s4, 0
	s_mov_b32 s9, s4
	v_add3_u32 v5, v9, v11, v10
	v_sub_co_u32 v8, vcc_lo, v6, v8
	v_mul_lo_u32 v9, v4, s21
	v_sub_co_ci_u32_e64 v5, null, v7, v5, vcc_lo
	s_waitcnt lgkmcnt(0)
	s_ashr_i32 s26, s28, 31
	s_ashr_i32 s5, s6, 31
	v_mul_lo_u32 v10, v5, s6
	v_mad_u64_u32 v[5:6], null, v8, s6, 0
	v_mul_lo_u32 v11, v8, s5
	s_ashr_i32 s6, s7, 31
	v_mul_lo_u32 v13, v3, s7
	v_mad_u64_u32 v[7:8], null, v2, s7, 0
	s_ashr_i32 s5, s30, 31
	s_mul_hi_u32 s7, s18, s8
	s_mov_b32 s27, s28
	v_add3_u32 v3, v6, v11, v10
	v_mul_lo_u32 v6, v2, s6
	v_sub_co_u32 v2, vcc_lo, v5, s30
	v_mad_u64_u32 v[4:5], null, v4, s20, 0
	s_mul_i32 s6, s19, s8
	v_subrev_co_ci_u32_e64 v3, null, s5, v3, vcc_lo
	v_add3_u32 v6, v8, v6, v13
	s_ashr_i32 s5, s31, 31
	s_mul_i32 s20, s18, s8
	v_add3_u32 v5, v5, v9, v12
	s_ashr_i32 s28, s29, 31
	s_add_i32 s7, s7, s6
	s_add_u32 s6, s20, s10
	s_addc_u32 s7, s7, 0
	v_lshlrev_b64 v[8:9], 2, v[4:5]
	v_sub_co_u32 v4, vcc_lo, v7, s31
	v_subrev_co_ci_u32_e64 v5, null, s5, v6, vcc_lo
	v_cvt_f32_u32_e32 v6, s16
	s_mul_i32 s7, s34, s7
	s_mul_hi_u32 s20, s34, s6
	v_add_co_u32 v12, vcc_lo, s0, v8
	s_add_i32 s7, s20, s7
	s_mul_i32 s20, s35, s6
	v_rcp_iflag_f32_e32 v6, v6
	s_add_i32 s7, s7, s20
	s_mul_i32 s6, s34, s6
	v_add_co_ci_u32_e64 v13, null, s1, v9, vcc_lo
	s_lshl_b64 s[6:7], s[6:7], 2
	s_mul_i32 s30, s34, 0x3fffc
	s_add_u32 s0, s2, s6
	s_addc_u32 s1, s3, s7
	v_add_co_u32 v0, vcc_lo, s0, v0
	v_add_co_ci_u32_e64 v1, null, s1, v1, vcc_lo
	s_mul_i32 s0, s35, 0x3fffc
	s_mul_hi_u32 s1, s34, 0x3fffc
	v_mul_f32_e32 v6, 0x4f7ffffe, v6
	s_add_i32 s31, s1, s0
	s_mul_i32 s0, s30, s19
	s_mul_hi_u32 s1, s30, s18
	s_mul_i32 s2, s31, s18
	s_add_i32 s0, s1, s0
	v_cmp_gt_i64_e64 s35, s[24:25], s[8:9]
	v_cvt_u32_f32_e32 v14, v6
	s_add_i32 s33, s0, s2
	s_sub_u32 s36, 0, s16
	s_mul_i32 s34, s30, s18
	s_subb_u32 s37, 0, s17
	s_ashr_i32 s2, s17, 31
	s_branch .LBB1_11
.LBB1_10:                               ;   in Loop: Header=BB1_11 Depth=1
	s_add_u32 s10, s10, 0xffff
	s_addc_u32 s11, s11, 0
	v_add_co_u32 v0, vcc_lo, v0, s30
	v_cmp_ge_i64_e64 s0, s[10:11], s[18:19]
	v_add_co_ci_u32_e64 v1, null, s31, v1, vcc_lo
	s_and_b32 vcc_lo, exec_lo, s0
	s_cbranch_vccnz .LBB1_20
.LBB1_11:                               ; =>This Loop Header: Depth=1
                                        ;     Child Loop BB1_14 Depth 2
	s_andn2_b32 vcc_lo, exec_lo, s35
	s_cbranch_vccnz .LBB1_10
; %bb.12:                               ;   in Loop: Header=BB1_11 Depth=1
	v_mad_u64_u32 v[6:7], null, s10, s27, v[2:3]
	s_mul_i32 s0, s11, s27
	s_mul_i32 s1, s10, s26
	v_mov_b32_e32 v9, v1
	v_mov_b32_e32 v8, v0
	s_mov_b64 s[6:7], s[8:9]
	v_add3_u32 v7, s1, s0, v7
	v_cmp_lt_i64_e32 vcc_lo, -1, v[6:7]
	v_cmp_gt_i64_e64 s0, s[12:13], v[6:7]
	v_lshlrev_b64 v[6:7], 2, v[6:7]
	s_and_b32 s38, vcc_lo, s0
	s_branch .LBB1_14
.LBB1_13:                               ;   in Loop: Header=BB1_14 Depth=2
	s_or_b32 exec_lo, exec_lo, s0
	s_add_u32 s6, s6, 0xffff
	s_addc_u32 s7, s7, 0
	s_waitcnt vmcnt(0)
	global_store_dword v[8:9], v15, off
	v_cmp_ge_i64_e64 s0, s[6:7], s[24:25]
	v_add_co_u32 v8, vcc_lo, v8, s34
	v_add_co_ci_u32_e64 v9, null, s33, v9, vcc_lo
	s_and_b32 vcc_lo, exec_lo, s0
	s_cbranch_vccnz .LBB1_10
.LBB1_14:                               ;   Parent Loop BB1_11 Depth=1
                                        ; =>  This Inner Loop Header: Depth=2
	s_or_b64 s[0:1], s[6:7], s[16:17]
	s_mov_b32 s5, s1
	s_cmp_lg_u64 s[4:5], 0
	s_cbranch_scc0 .LBB1_19
; %bb.15:                               ;   in Loop: Header=BB1_14 Depth=2
	s_add_u32 s0, s16, s2
	s_mov_b32 s3, s2
	s_addc_u32 s1, s17, s2
	s_xor_b64 s[0:1], s[0:1], s[2:3]
	v_cvt_f32_u32_e32 v10, s0
	v_cvt_f32_u32_e32 v11, s1
	s_sub_u32 s21, 0, s0
	s_subb_u32 s39, 0, s1
	v_fmac_f32_e32 v10, 0x4f800000, v11
	v_rcp_f32_e32 v10, v10
	v_mul_f32_e32 v10, 0x5f7ffffc, v10
	v_mul_f32_e32 v11, 0x2f800000, v10
	v_trunc_f32_e32 v11, v11
	v_fmac_f32_e32 v10, 0xcf800000, v11
	v_cvt_u32_f32_e32 v11, v11
	v_cvt_u32_f32_e32 v10, v10
	v_readfirstlane_b32 s5, v11
	v_readfirstlane_b32 s20, v10
	s_mul_i32 s40, s21, s5
	s_mul_hi_u32 s42, s21, s20
	s_mul_i32 s41, s39, s20
	s_add_i32 s40, s42, s40
	s_mul_i32 s43, s21, s20
	s_add_i32 s40, s40, s41
	s_mul_hi_u32 s42, s20, s43
	s_mul_i32 s45, s20, s40
	s_mul_hi_u32 s44, s5, s43
	s_mul_i32 s41, s5, s43
	s_mul_hi_u32 s43, s20, s40
	s_add_u32 s42, s42, s45
	s_addc_u32 s43, 0, s43
	s_mul_hi_u32 s46, s5, s40
	s_add_u32 s41, s42, s41
	s_mul_i32 s40, s5, s40
	s_addc_u32 s41, s43, s44
	s_addc_u32 s42, s46, 0
	s_add_u32 s40, s41, s40
	s_addc_u32 s41, 0, s42
	s_add_u32 s20, s20, s40
	s_cselect_b32 s40, -1, 0
	s_mul_hi_u32 s42, s21, s20
	s_cmp_lg_u32 s40, 0
	s_mul_i32 s40, s21, s20
	s_addc_u32 s5, s5, s41
	s_mul_i32 s39, s39, s20
	s_mul_i32 s21, s21, s5
	s_mul_hi_u32 s41, s20, s40
	s_add_i32 s21, s42, s21
	s_mul_hi_u32 s42, s5, s40
	s_add_i32 s21, s21, s39
	s_mul_i32 s39, s5, s40
	s_mul_i32 s44, s20, s21
	s_mul_hi_u32 s43, s20, s21
	s_add_u32 s41, s41, s44
	s_addc_u32 s43, 0, s43
	s_mul_hi_u32 s40, s5, s21
	s_add_u32 s39, s41, s39
	s_mul_i32 s21, s5, s21
	s_addc_u32 s39, s43, s42
	s_addc_u32 s40, s40, 0
	s_add_u32 s21, s39, s21
	s_addc_u32 s39, 0, s40
	s_add_u32 s42, s20, s21
	s_cselect_b32 s20, -1, 0
	s_cmp_lg_u32 s20, 0
	s_addc_u32 s5, s5, s39
	s_ashr_i32 s20, s7, 31
	s_add_u32 s40, s6, s20
	s_mov_b32 s21, s20
	s_addc_u32 s41, s7, s20
	s_xor_b64 s[40:41], s[40:41], s[20:21]
	s_mul_i32 s43, s40, s5
	s_mul_hi_u32 s44, s40, s42
	s_mul_hi_u32 s39, s40, s5
	;; [unrolled: 1-line block ×3, first 2 shown]
	s_mul_i32 s42, s41, s42
	s_add_u32 s43, s44, s43
	s_addc_u32 s39, 0, s39
	s_mul_hi_u32 s45, s41, s5
	s_add_u32 s42, s43, s42
	s_mul_i32 s5, s41, s5
	s_addc_u32 s39, s39, s46
	s_addc_u32 s42, s45, 0
	s_add_u32 s5, s39, s5
	s_addc_u32 s39, 0, s42
	s_mul_hi_u32 s42, s0, s5
	s_mul_i32 s43, s0, s39
	s_mul_i32 s44, s1, s5
	s_add_i32 s42, s42, s43
	s_mul_i32 s43, s0, s5
	s_add_i32 s42, s42, s44
	s_sub_i32 s44, s41, s42
	s_sub_u32 s40, s40, s43
	s_cselect_b32 s43, -1, 0
	s_cmp_lg_u32 s43, 0
	s_subb_u32 s44, s44, s1
	s_sub_u32 s45, s40, s0
	s_cselect_b32 s46, -1, 0
	s_cmp_lg_u32 s46, 0
	s_subb_u32 s44, s44, 0
	s_cmp_ge_u32 s44, s1
	s_cselect_b32 s46, -1, 0
	s_cmp_ge_u32 s45, s0
	s_cselect_b32 s45, -1, 0
	s_cmp_eq_u32 s44, s1
	s_cselect_b32 s44, s45, s46
	s_add_u32 s45, s5, 1
	s_addc_u32 s46, s39, 0
	s_add_u32 s47, s5, 2
	s_addc_u32 s48, s39, 0
	s_cmp_lg_u32 s44, 0
	s_cselect_b32 s44, s47, s45
	s_cselect_b32 s45, s48, s46
	s_cmp_lg_u32 s43, 0
	s_subb_u32 s41, s41, s42
	s_cmp_ge_u32 s41, s1
	s_cselect_b32 s42, -1, 0
	s_cmp_ge_u32 s40, s0
	s_cselect_b32 s0, -1, 0
	s_cmp_eq_u32 s41, s1
	s_cselect_b32 s0, s0, s42
	s_cmp_lg_u32 s0, 0
	s_cselect_b32 s1, s45, s39
	s_cselect_b32 s0, s44, s5
	s_xor_b64 s[20:21], s[20:21], s[2:3]
	s_xor_b64 s[0:1], s[0:1], s[20:21]
	s_sub_u32 s20, s0, s20
	s_subb_u32 s21, s1, s21
	s_cbranch_execnz .LBB1_17
.LBB1_16:                               ;   in Loop: Header=BB1_14 Depth=2
	v_readfirstlane_b32 s0, v14
	s_sub_i32 s1, 0, s16
	s_mov_b32 s21, s4
	s_mul_i32 s1, s1, s0
	s_mul_hi_u32 s1, s0, s1
	s_add_i32 s0, s0, s1
	s_mul_hi_u32 s0, s6, s0
	s_mul_i32 s1, s0, s16
	s_add_i32 s3, s0, 1
	s_sub_i32 s1, s6, s1
	s_sub_i32 s5, s1, s16
	s_cmp_ge_u32 s1, s16
	s_cselect_b32 s0, s3, s0
	s_cselect_b32 s1, s5, s1
	s_add_i32 s3, s0, 1
	s_cmp_ge_u32 s1, s16
	s_cselect_b32 s20, s3, s0
.LBB1_17:                               ;   in Loop: Header=BB1_14 Depth=2
	s_mul_i32 s0, s36, s21
	s_mul_hi_u32 s1, s36, s20
	s_mul_i32 s3, s36, s20
	s_add_i32 s0, s1, s0
	s_mul_i32 s1, s37, s20
	v_mov_b32_e32 v15, 0
	s_add_i32 s0, s0, s1
	s_add_u32 s1, s6, s3
	s_addc_u32 s0, s7, s0
	v_mad_u64_u32 v[10:11], null, s1, s29, v[4:5]
	s_mul_i32 s1, s1, s28
	s_mul_i32 s0, s0, s29
	v_add3_u32 v11, s1, s0, v11
	v_cmp_lt_i64_e32 vcc_lo, -1, v[10:11]
	v_cmp_gt_i64_e64 s0, s[14:15], v[10:11]
	s_and_b32 s0, vcc_lo, s0
	s_and_b32 s1, s0, s38
	s_and_saveexec_b32 s0, s1
	s_cbranch_execz .LBB1_13
; %bb.18:                               ;   in Loop: Header=BB1_14 Depth=2
	v_mul_lo_u32 v15, v11, s12
	v_mul_lo_u32 v16, v10, s13
	v_mad_u64_u32 v[10:11], null, v10, s12, 0
	s_mul_i32 s1, s20, s23
	s_mul_hi_u32 s3, s20, s22
	s_mul_i32 s5, s21, s22
	s_add_i32 s1, s3, s1
	s_mul_i32 s20, s20, s22
	s_add_i32 s21, s1, s5
	v_add3_u32 v11, v11, v16, v15
	s_lshl_b64 s[20:21], s[20:21], 2
	v_add_co_u32 v15, vcc_lo, v12, s20
	v_lshlrev_b64 v[10:11], 2, v[10:11]
	v_add_co_ci_u32_e64 v16, null, s21, v13, vcc_lo
	v_add_co_u32 v10, vcc_lo, v15, v10
	v_add_co_ci_u32_e64 v11, null, v16, v11, vcc_lo
	v_add_co_u32 v10, vcc_lo, v10, v6
	v_add_co_ci_u32_e64 v11, null, v11, v7, vcc_lo
	global_load_dword v15, v[10:11], off
	s_branch .LBB1_13
.LBB1_19:                               ;   in Loop: Header=BB1_14 Depth=2
                                        ; implicit-def: $sgpr20_sgpr21
	s_branch .LBB1_16
.LBB1_20:
	s_endpgm
.LBB1_21:
                                        ; implicit-def: $vgpr4_vgpr5
	s_branch .LBB1_4
	.section	.rodata,"a",@progbits
	.p2align	6, 0x0
	.amdhsa_kernel _ZL13im2col_kernelIfEvPKfPT_lllllllllllliiiiii
		.amdhsa_group_segment_fixed_size 0
		.amdhsa_private_segment_fixed_size 0
		.amdhsa_kernarg_size 392
		.amdhsa_user_sgpr_count 6
		.amdhsa_user_sgpr_private_segment_buffer 1
		.amdhsa_user_sgpr_dispatch_ptr 0
		.amdhsa_user_sgpr_queue_ptr 0
		.amdhsa_user_sgpr_kernarg_segment_ptr 1
		.amdhsa_user_sgpr_dispatch_id 0
		.amdhsa_user_sgpr_flat_scratch_init 0
		.amdhsa_user_sgpr_private_segment_size 0
		.amdhsa_wavefront_size32 1
		.amdhsa_uses_dynamic_stack 0
		.amdhsa_system_sgpr_private_segment_wavefront_offset 0
		.amdhsa_system_sgpr_workgroup_id_x 1
		.amdhsa_system_sgpr_workgroup_id_y 1
		.amdhsa_system_sgpr_workgroup_id_z 1
		.amdhsa_system_sgpr_workgroup_info 0
		.amdhsa_system_vgpr_workitem_id 0
		.amdhsa_next_free_vgpr 17
		.amdhsa_next_free_sgpr 49
		.amdhsa_reserve_vcc 1
		.amdhsa_reserve_flat_scratch 0
		.amdhsa_float_round_mode_32 0
		.amdhsa_float_round_mode_16_64 0
		.amdhsa_float_denorm_mode_32 3
		.amdhsa_float_denorm_mode_16_64 3
		.amdhsa_dx10_clamp 1
		.amdhsa_ieee_mode 1
		.amdhsa_fp16_overflow 0
		.amdhsa_workgroup_processor_mode 1
		.amdhsa_memory_ordered 1
		.amdhsa_forward_progress 1
		.amdhsa_shared_vgpr_count 0
		.amdhsa_exception_fp_ieee_invalid_op 0
		.amdhsa_exception_fp_denorm_src 0
		.amdhsa_exception_fp_ieee_div_zero 0
		.amdhsa_exception_fp_ieee_overflow 0
		.amdhsa_exception_fp_ieee_underflow 0
		.amdhsa_exception_fp_ieee_inexact 0
		.amdhsa_exception_int_div_zero 0
	.end_amdhsa_kernel
	.section	.text._ZL13im2col_kernelIfEvPKfPT_lllllllllllliiiiii,"axG",@progbits,_ZL13im2col_kernelIfEvPKfPT_lllllllllllliiiiii,comdat
.Lfunc_end1:
	.size	_ZL13im2col_kernelIfEvPKfPT_lllllllllllliiiiii, .Lfunc_end1-_ZL13im2col_kernelIfEvPKfPT_lllllllllllliiiiii
                                        ; -- End function
	.set _ZL13im2col_kernelIfEvPKfPT_lllllllllllliiiiii.num_vgpr, 17
	.set _ZL13im2col_kernelIfEvPKfPT_lllllllllllliiiiii.num_agpr, 0
	.set _ZL13im2col_kernelIfEvPKfPT_lllllllllllliiiiii.numbered_sgpr, 49
	.set _ZL13im2col_kernelIfEvPKfPT_lllllllllllliiiiii.num_named_barrier, 0
	.set _ZL13im2col_kernelIfEvPKfPT_lllllllllllliiiiii.private_seg_size, 0
	.set _ZL13im2col_kernelIfEvPKfPT_lllllllllllliiiiii.uses_vcc, 1
	.set _ZL13im2col_kernelIfEvPKfPT_lllllllllllliiiiii.uses_flat_scratch, 0
	.set _ZL13im2col_kernelIfEvPKfPT_lllllllllllliiiiii.has_dyn_sized_stack, 0
	.set _ZL13im2col_kernelIfEvPKfPT_lllllllllllliiiiii.has_recursion, 0
	.set _ZL13im2col_kernelIfEvPKfPT_lllllllllllliiiiii.has_indirect_call, 0
	.section	.AMDGPU.csdata,"",@progbits
; Kernel info:
; codeLenInByte = 3128
; TotalNumSgprs: 51
; NumVgprs: 17
; ScratchSize: 0
; MemoryBound: 0
; FloatMode: 240
; IeeeMode: 1
; LDSByteSize: 0 bytes/workgroup (compile time only)
; SGPRBlocks: 0
; VGPRBlocks: 2
; NumSGPRsForWavesPerEU: 51
; NumVGPRsForWavesPerEU: 17
; Occupancy: 16
; WaveLimiterHint : 1
; COMPUTE_PGM_RSRC2:SCRATCH_EN: 0
; COMPUTE_PGM_RSRC2:USER_SGPR: 6
; COMPUTE_PGM_RSRC2:TRAP_HANDLER: 0
; COMPUTE_PGM_RSRC2:TGID_X_EN: 1
; COMPUTE_PGM_RSRC2:TGID_Y_EN: 1
; COMPUTE_PGM_RSRC2:TGID_Z_EN: 1
; COMPUTE_PGM_RSRC2:TIDIG_COMP_CNT: 0
	.section	.text._ZL16im2col_3d_kernelI6__halfEvPKfPT_llllllllllllllllllllllllllllliiiiiiiii,"axG",@progbits,_ZL16im2col_3d_kernelI6__halfEvPKfPT_llllllllllllllllllllllllllllliiiiiiiii,comdat
	.globl	_ZL16im2col_3d_kernelI6__halfEvPKfPT_llllllllllllllllllllllllllllliiiiiiiii ; -- Begin function _ZL16im2col_3d_kernelI6__halfEvPKfPT_llllllllllllllllllllllllllllliiiiiiiii
	.p2align	8
	.type	_ZL16im2col_3d_kernelI6__halfEvPKfPT_llllllllllllllllllllllllllllliiiiiiiii,@function
_ZL16im2col_3d_kernelI6__halfEvPKfPT_llllllllllllllllllllllllllllliiiiiiiii: ; @_ZL16im2col_3d_kernelI6__halfEvPKfPT_llllllllllllllllllllllllllllliiiiiiiii
; %bb.0:
	s_clause 0x1
	s_load_dword s0, s[4:5], 0x12c
	s_load_dwordx2 s[34:35], s[4:5], 0xa0
	s_waitcnt lgkmcnt(0)
	s_and_b32 s0, s0, 0xffff
	v_mad_u64_u32 v[2:3], null, s6, s0, v[0:1]
	v_mov_b32_e32 v3, 0
	s_mov_b32 s0, exec_lo
	v_cmpx_gt_i64_e64 s[34:35], v[2:3]
	s_cbranch_execz .LBB2_39
; %bb.1:
	s_mov_b32 s10, s7
	s_load_dwordx2 s[6:7], s[4:5], 0x78
	s_mov_b32 s2, 0
	s_waitcnt lgkmcnt(0)
	s_mov_b32 s3, s7
	s_cmp_lg_u64 s[2:3], 0
	s_cbranch_scc0 .LBB2_40
; %bb.2:
	s_ashr_i32 s12, s7, 31
	v_add_co_u32 v7, s3, v2, 0
	s_add_u32 s0, s6, s12
	s_mov_b32 s13, s12
	s_addc_u32 s1, s7, s12
	v_add_co_ci_u32_e64 v8, null, 0, 0, s3
	s_xor_b64 s[14:15], s[0:1], s[12:13]
	v_cvt_f32_u32_e32 v0, s14
	v_cvt_f32_u32_e32 v1, s15
	s_sub_u32 s9, 0, s14
	s_subb_u32 s11, 0, s15
	v_fmamk_f32 v0, v1, 0x4f800000, v0
	v_rcp_f32_e32 v0, v0
	v_mul_f32_e32 v0, 0x5f7ffffc, v0
	v_mul_f32_e32 v1, 0x2f800000, v0
	v_trunc_f32_e32 v1, v1
	v_fmamk_f32 v0, v1, 0xcf800000, v0
	v_cvt_u32_f32_e32 v1, v1
	v_cvt_u32_f32_e32 v0, v0
	v_readfirstlane_b32 s0, v1
	v_readfirstlane_b32 s1, v0
	s_mul_i32 s13, s9, s0
	s_mul_hi_u32 s17, s9, s1
	s_mul_i32 s16, s11, s1
	s_add_i32 s13, s17, s13
	s_mul_i32 s18, s9, s1
	s_add_i32 s13, s13, s16
	s_mul_hi_u32 s17, s1, s18
	s_mul_i32 s20, s1, s13
	s_mul_hi_u32 s19, s0, s18
	s_mul_i32 s16, s0, s18
	s_mul_hi_u32 s18, s1, s13
	s_add_u32 s17, s17, s20
	s_addc_u32 s18, 0, s18
	s_mul_hi_u32 s21, s0, s13
	s_add_u32 s16, s17, s16
	s_mul_i32 s13, s0, s13
	s_addc_u32 s16, s18, s19
	s_addc_u32 s17, s21, 0
	s_add_u32 s13, s16, s13
	s_addc_u32 s16, 0, s17
	s_add_u32 s1, s1, s13
	s_cselect_b32 s13, -1, 0
	s_mul_hi_u32 s17, s9, s1
	s_cmp_lg_u32 s13, 0
	s_mul_i32 s13, s9, s1
	s_addc_u32 s0, s0, s16
	s_mul_i32 s11, s11, s1
	s_mul_i32 s9, s9, s0
	s_mul_hi_u32 s16, s1, s13
	s_add_i32 s9, s17, s9
	s_mul_hi_u32 s17, s0, s13
	s_add_i32 s9, s9, s11
	s_mul_i32 s11, s0, s13
	s_mul_i32 s19, s1, s9
	s_mul_hi_u32 s18, s1, s9
	s_add_u32 s16, s16, s19
	s_addc_u32 s18, 0, s18
	s_mul_hi_u32 s13, s0, s9
	s_add_u32 s11, s16, s11
	s_mul_i32 s9, s0, s9
	s_addc_u32 s11, s18, s17
	s_addc_u32 s13, s13, 0
	s_add_u32 s9, s11, s9
	s_addc_u32 s11, 0, s13
	s_add_u32 s1, s1, s9
	s_cselect_b32 s9, -1, 0
	v_mul_hi_u32 v9, v7, s1
	s_cmp_lg_u32 s9, 0
	v_mad_u64_u32 v[3:4], null, v8, s1, 0
	s_addc_u32 s0, s0, s11
	v_mad_u64_u32 v[0:1], null, v7, s0, 0
	v_mad_u64_u32 v[5:6], null, v8, s0, 0
	v_add_co_u32 v0, vcc_lo, v9, v0
	v_add_co_ci_u32_e64 v1, null, 0, v1, vcc_lo
	v_add_co_u32 v0, vcc_lo, v0, v3
	v_add_co_ci_u32_e32 v0, vcc_lo, v1, v4, vcc_lo
	v_add_co_ci_u32_e32 v1, vcc_lo, 0, v6, vcc_lo
	v_add_co_u32 v3, vcc_lo, v0, v5
	v_add_co_ci_u32_e64 v4, null, 0, v1, vcc_lo
	v_mul_lo_u32 v5, s15, v3
	v_mad_u64_u32 v[0:1], null, s14, v3, 0
	v_mul_lo_u32 v6, s14, v4
	v_sub_co_u32 v0, vcc_lo, v7, v0
	v_add3_u32 v1, v1, v6, v5
	v_add_co_u32 v6, s0, v3, 2
	v_add_co_ci_u32_e64 v7, null, 0, v4, s0
	v_sub_nc_u32_e32 v5, v8, v1
	v_sub_co_u32 v9, s0, v0, s14
	v_sub_co_ci_u32_e64 v1, null, v8, v1, vcc_lo
	v_subrev_co_ci_u32_e64 v5, null, s15, v5, vcc_lo
	v_cmp_le_u32_e32 vcc_lo, s14, v9
	v_subrev_co_ci_u32_e64 v5, null, 0, v5, s0
	v_cndmask_b32_e64 v8, 0, -1, vcc_lo
	v_cmp_eq_u32_e64 s0, s15, v1
	v_cmp_le_u32_e32 vcc_lo, s15, v5
	v_cndmask_b32_e64 v9, 0, -1, vcc_lo
	v_cmp_le_u32_e32 vcc_lo, s14, v0
	v_cndmask_b32_e64 v0, 0, -1, vcc_lo
	v_cmp_le_u32_e32 vcc_lo, s15, v1
	v_cndmask_b32_e64 v10, 0, -1, vcc_lo
	v_cmp_eq_u32_e32 vcc_lo, s15, v5
	v_cndmask_b32_e64 v0, v10, v0, s0
	v_cndmask_b32_e32 v5, v9, v8, vcc_lo
	v_add_co_u32 v8, vcc_lo, v3, 1
	v_add_co_ci_u32_e64 v9, null, 0, v4, vcc_lo
	v_cmp_ne_u32_e32 vcc_lo, 0, v5
	v_cndmask_b32_e32 v1, v9, v7, vcc_lo
	v_cndmask_b32_e32 v5, v8, v6, vcc_lo
	v_cmp_ne_u32_e32 vcc_lo, 0, v0
	v_cndmask_b32_e32 v0, v4, v1, vcc_lo
	v_cndmask_b32_e32 v1, v3, v5, vcc_lo
	v_xor_b32_e32 v3, s12, v0
	v_xor_b32_e32 v1, s12, v1
	v_sub_co_u32 v0, vcc_lo, v1, s12
	v_subrev_co_ci_u32_e64 v1, null, s12, v3, vcc_lo
	s_andn2_b32 vcc_lo, exec_lo, s2
	s_cbranch_vccnz .LBB2_4
.LBB2_3:
	v_cvt_f32_u32_e32 v0, s6
	s_sub_i32 s0, 0, s6
	v_rcp_iflag_f32_e32 v0, v0
	v_mul_f32_e32 v0, 0x4f7ffffe, v0
	v_cvt_u32_f32_e32 v0, v0
	v_mul_lo_u32 v1, s0, v0
	v_mul_hi_u32 v1, v0, v1
	v_add_nc_u32_e32 v0, v0, v1
	v_mul_hi_u32 v0, v2, v0
	v_mul_lo_u32 v1, v0, s6
	v_add_nc_u32_e32 v3, 1, v0
	v_sub_nc_u32_e32 v1, v2, v1
	v_subrev_nc_u32_e32 v4, s6, v1
	v_cmp_le_u32_e32 vcc_lo, s6, v1
	v_cndmask_b32_e32 v1, v1, v4, vcc_lo
	v_cndmask_b32_e32 v0, v0, v3, vcc_lo
	v_cmp_le_u32_e32 vcc_lo, s6, v1
	v_add_nc_u32_e32 v3, 1, v0
	v_mov_b32_e32 v1, 0
	v_cndmask_b32_e32 v0, v0, v3, vcc_lo
.LBB2_4:
	s_load_dwordx4 s[28:31], s[4:5], 0x60
	s_mov_b32 s11, 0
	s_waitcnt lgkmcnt(0)
	v_cmp_le_i64_e64 s0, s[30:31], s[10:11]
	s_and_b32 vcc_lo, exec_lo, s0
	s_cbranch_vccnz .LBB2_39
; %bb.5:
	s_load_dwordx2 s[2:3], s[4:5], 0x50
	s_mov_b32 s0, s11
	s_waitcnt lgkmcnt(0)
	s_mov_b32 s1, s3
	s_cmp_lg_u64 s[0:1], 0
	s_cbranch_scc0 .LBB2_41
; %bb.6:
	s_ashr_i32 s0, s3, 31
	v_add_co_u32 v9, s9, v2, 0
	s_add_u32 s12, s2, s0
	s_mov_b32 s1, s0
	s_addc_u32 s13, s3, s0
	v_add_co_ci_u32_e64 v10, null, 0, 0, s9
	s_xor_b64 s[12:13], s[12:13], s[0:1]
	v_cvt_f32_u32_e32 v3, s12
	v_cvt_f32_u32_e32 v4, s13
	s_sub_u32 s14, 0, s12
	s_subb_u32 s15, 0, s13
	v_fmamk_f32 v3, v4, 0x4f800000, v3
	v_rcp_f32_e32 v3, v3
	v_mul_f32_e32 v3, 0x5f7ffffc, v3
	v_mul_f32_e32 v4, 0x2f800000, v3
	v_trunc_f32_e32 v4, v4
	v_fmamk_f32 v3, v4, 0xcf800000, v3
	v_cvt_u32_f32_e32 v4, v4
	v_cvt_u32_f32_e32 v3, v3
	v_readfirstlane_b32 s0, v4
	v_readfirstlane_b32 s1, v3
	s_mul_i32 s16, s14, s0
	s_mul_hi_u32 s18, s14, s1
	s_mul_i32 s17, s15, s1
	s_add_i32 s16, s18, s16
	s_mul_i32 s19, s14, s1
	s_add_i32 s16, s16, s17
	s_mul_hi_u32 s18, s1, s19
	s_mul_i32 s21, s1, s16
	s_mul_hi_u32 s20, s0, s19
	s_mul_i32 s17, s0, s19
	s_mul_hi_u32 s19, s1, s16
	s_add_u32 s18, s18, s21
	s_addc_u32 s19, 0, s19
	s_mul_hi_u32 s22, s0, s16
	s_add_u32 s17, s18, s17
	s_mul_i32 s16, s0, s16
	s_addc_u32 s17, s19, s20
	s_addc_u32 s18, s22, 0
	s_add_u32 s16, s17, s16
	s_addc_u32 s17, 0, s18
	s_add_u32 s1, s1, s16
	s_cselect_b32 s16, -1, 0
	s_mul_hi_u32 s18, s14, s1
	s_cmp_lg_u32 s16, 0
	s_mul_i32 s16, s14, s1
	s_addc_u32 s0, s0, s17
	s_mul_i32 s15, s15, s1
	s_mul_i32 s14, s14, s0
	s_mul_hi_u32 s17, s1, s16
	s_add_i32 s14, s18, s14
	s_mul_hi_u32 s18, s0, s16
	s_add_i32 s14, s14, s15
	s_mul_i32 s15, s0, s16
	s_mul_i32 s20, s1, s14
	s_mul_hi_u32 s19, s1, s14
	s_add_u32 s17, s17, s20
	s_addc_u32 s19, 0, s19
	s_mul_hi_u32 s16, s0, s14
	s_add_u32 s15, s17, s15
	s_mul_i32 s14, s0, s14
	s_addc_u32 s15, s19, s18
	s_addc_u32 s16, s16, 0
	s_add_u32 s14, s15, s14
	s_addc_u32 s15, 0, s16
	s_add_u32 s1, s1, s14
	s_cselect_b32 s14, -1, 0
	v_mul_hi_u32 v11, v9, s1
	s_cmp_lg_u32 s14, 0
	v_mad_u64_u32 v[5:6], null, v10, s1, 0
	s_addc_u32 s0, s0, s15
	v_mad_u64_u32 v[3:4], null, v9, s0, 0
	v_mad_u64_u32 v[7:8], null, v10, s0, 0
	v_add_co_u32 v3, vcc_lo, v11, v3
	v_add_co_ci_u32_e64 v4, null, 0, v4, vcc_lo
	v_add_co_u32 v3, vcc_lo, v3, v5
	v_add_co_ci_u32_e32 v3, vcc_lo, v4, v6, vcc_lo
	v_add_co_ci_u32_e32 v4, vcc_lo, 0, v8, vcc_lo
	v_add_co_u32 v3, vcc_lo, v3, v7
	v_add_co_ci_u32_e64 v5, null, 0, v4, vcc_lo
	v_mul_lo_u32 v6, s13, v3
	v_mad_u64_u32 v[3:4], null, s12, v3, 0
	v_mul_lo_u32 v5, s12, v5
	v_sub_co_u32 v3, vcc_lo, v9, v3
	v_add3_u32 v4, v4, v5, v6
	v_cmp_le_u32_e64 s0, s12, v3
	v_sub_nc_u32_e32 v5, v10, v4
	v_sub_co_ci_u32_e64 v4, null, v10, v4, vcc_lo
	v_cndmask_b32_e64 v8, 0, -1, s0
	v_subrev_co_ci_u32_e64 v5, null, s13, v5, vcc_lo
	v_sub_co_u32 v6, vcc_lo, v3, s12
	v_subrev_co_ci_u32_e64 v7, null, 0, v5, vcc_lo
	v_cmp_le_u32_e64 s0, s12, v6
	v_subrev_co_ci_u32_e64 v5, null, s13, v5, vcc_lo
	v_cmp_le_u32_e32 vcc_lo, s13, v4
	v_cndmask_b32_e64 v9, 0, -1, s0
	v_cmp_le_u32_e64 s0, s13, v7
	v_cndmask_b32_e64 v11, 0, -1, vcc_lo
	v_cmp_eq_u32_e32 vcc_lo, s13, v7
	v_cndmask_b32_e64 v10, 0, -1, s0
	v_cmp_eq_u32_e64 s0, s13, v4
	v_cndmask_b32_e32 v9, v10, v9, vcc_lo
	v_sub_co_u32 v10, vcc_lo, v6, s12
	v_subrev_co_ci_u32_e64 v5, null, 0, v5, vcc_lo
	v_cmp_ne_u32_e32 vcc_lo, 0, v9
	v_cndmask_b32_e64 v8, v11, v8, s0
	v_cndmask_b32_e32 v5, v7, v5, vcc_lo
	v_cndmask_b32_e32 v6, v6, v10, vcc_lo
	v_cmp_ne_u32_e32 vcc_lo, 0, v8
	v_cndmask_b32_e32 v3, v3, v6, vcc_lo
	v_cndmask_b32_e32 v4, v4, v5, vcc_lo
	v_sub_co_u32 v8, vcc_lo, v3, 0
	v_subrev_co_ci_u32_e64 v9, null, 0, v4, vcc_lo
	v_cvt_f32_u32_e32 v3, s2
	s_cbranch_execnz .LBB2_8
.LBB2_7:
	v_rcp_iflag_f32_e32 v4, v3
	s_sub_i32 s0, 0, s2
	v_mov_b32_e32 v9, 0
	v_mul_f32_e32 v4, 0x4f7ffffe, v4
	v_cvt_u32_f32_e32 v4, v4
	v_mul_lo_u32 v5, s0, v4
	v_mul_hi_u32 v5, v4, v5
	v_add_nc_u32_e32 v4, v4, v5
	v_mul_hi_u32 v4, v2, v4
	v_mul_lo_u32 v4, v4, s2
	v_sub_nc_u32_e32 v4, v2, v4
	v_subrev_nc_u32_e32 v5, s2, v4
	v_cmp_le_u32_e32 vcc_lo, s2, v4
	v_cndmask_b32_e32 v4, v4, v5, vcc_lo
	v_subrev_nc_u32_e32 v5, s2, v4
	v_cmp_le_u32_e32 vcc_lo, s2, v4
	v_cndmask_b32_e32 v8, v4, v5, vcc_lo
.LBB2_8:
	s_load_dwordx2 s[12:13], s[4:5], 0x88
	v_mul_lo_u32 v6, v1, s6
	v_mul_lo_u32 v7, v0, s7
	v_mad_u64_u32 v[4:5], null, v0, s6, 0
	v_add3_u32 v5, v5, v7, v6
	v_sub_co_u32 v2, vcc_lo, v2, v4
	v_mov_b32_e32 v6, 0
	v_sub_co_ci_u32_e64 v12, null, 0, v5, vcc_lo
	s_waitcnt lgkmcnt(0)
	v_or_b32_e32 v7, s13, v12
	v_cmp_ne_u64_e32 vcc_lo, 0, v[6:7]
                                        ; implicit-def: $vgpr6_vgpr7
	s_and_saveexec_b32 s0, vcc_lo
	s_xor_b32 s1, exec_lo, s0
	s_cbranch_execz .LBB2_10
; %bb.9:
	s_ashr_i32 s6, s13, 31
	v_ashrrev_i32_e32 v15, 31, v12
	s_add_u32 s14, s12, s6
	s_mov_b32 s7, s6
	s_addc_u32 s15, s13, s6
	s_xor_b64 s[14:15], s[14:15], s[6:7]
	v_add_co_u32 v10, vcc_lo, v2, v15
	v_cvt_f32_u32_e32 v6, s14
	v_cvt_f32_u32_e32 v7, s15
	s_sub_u32 s9, 0, s14
	s_subb_u32 s16, 0, s15
	v_add_co_ci_u32_e64 v11, null, v12, v15, vcc_lo
	v_fmamk_f32 v6, v7, 0x4f800000, v6
	v_xor_b32_e32 v16, v10, v15
	v_xor_b32_e32 v17, v11, v15
	v_rcp_f32_e32 v6, v6
	v_mul_f32_e32 v6, 0x5f7ffffc, v6
	v_mul_f32_e32 v7, 0x2f800000, v6
	v_trunc_f32_e32 v7, v7
	v_fmamk_f32 v6, v7, 0xcf800000, v6
	v_cvt_u32_f32_e32 v7, v7
	v_cvt_u32_f32_e32 v6, v6
	v_readfirstlane_b32 s0, v7
	v_readfirstlane_b32 s7, v6
	s_mul_i32 s17, s9, s0
	s_mul_hi_u32 s19, s9, s7
	s_mul_i32 s18, s16, s7
	s_add_i32 s17, s19, s17
	s_mul_i32 s20, s9, s7
	s_add_i32 s17, s17, s18
	s_mul_hi_u32 s19, s7, s20
	s_mul_i32 s22, s7, s17
	s_mul_hi_u32 s21, s0, s20
	s_mul_i32 s18, s0, s20
	s_mul_hi_u32 s20, s7, s17
	s_add_u32 s19, s19, s22
	s_addc_u32 s20, 0, s20
	s_mul_hi_u32 s23, s0, s17
	s_add_u32 s18, s19, s18
	s_mul_i32 s17, s0, s17
	s_addc_u32 s18, s20, s21
	s_addc_u32 s19, s23, 0
	s_add_u32 s17, s18, s17
	s_addc_u32 s18, 0, s19
	s_add_u32 s7, s7, s17
	s_cselect_b32 s17, -1, 0
	s_mul_hi_u32 s19, s9, s7
	s_cmp_lg_u32 s17, 0
	s_mul_i32 s17, s9, s7
	s_addc_u32 s0, s0, s18
	s_mul_i32 s16, s16, s7
	s_mul_i32 s9, s9, s0
	s_mul_hi_u32 s18, s7, s17
	s_add_i32 s9, s19, s9
	s_mul_hi_u32 s19, s0, s17
	s_add_i32 s9, s9, s16
	s_mul_i32 s16, s0, s17
	s_mul_i32 s21, s7, s9
	s_mul_hi_u32 s20, s7, s9
	s_add_u32 s18, s18, s21
	s_addc_u32 s20, 0, s20
	s_mul_hi_u32 s17, s0, s9
	s_add_u32 s16, s18, s16
	s_mul_i32 s9, s0, s9
	s_addc_u32 s16, s20, s19
	s_addc_u32 s17, s17, 0
	s_add_u32 s9, s16, s9
	s_addc_u32 s16, 0, s17
	s_add_u32 s7, s7, s9
	s_cselect_b32 s9, -1, 0
	v_mul_hi_u32 v18, v16, s7
	s_cmp_lg_u32 s9, 0
	v_mad_u64_u32 v[10:11], null, v17, s7, 0
	s_addc_u32 s0, s0, s16
	v_mad_u64_u32 v[6:7], null, v16, s0, 0
	v_mad_u64_u32 v[13:14], null, v17, s0, 0
	v_add_co_u32 v6, vcc_lo, v18, v6
	v_add_co_ci_u32_e64 v7, null, 0, v7, vcc_lo
	v_add_co_u32 v6, vcc_lo, v6, v10
	v_add_co_ci_u32_e32 v6, vcc_lo, v7, v11, vcc_lo
	v_add_co_ci_u32_e32 v7, vcc_lo, 0, v14, vcc_lo
	v_add_co_u32 v10, vcc_lo, v6, v13
	v_add_co_ci_u32_e64 v11, null, 0, v7, vcc_lo
	v_mul_lo_u32 v13, s15, v10
	v_mad_u64_u32 v[6:7], null, s14, v10, 0
	v_mul_lo_u32 v14, s14, v11
	v_sub_co_u32 v6, vcc_lo, v16, v6
	v_add3_u32 v7, v7, v14, v13
	v_add_co_u32 v14, s0, v10, 2
	v_add_co_ci_u32_e64 v16, null, 0, v11, s0
	v_sub_nc_u32_e32 v13, v17, v7
	v_sub_co_u32 v18, s0, v6, s14
	v_sub_co_ci_u32_e64 v7, null, v17, v7, vcc_lo
	v_subrev_co_ci_u32_e64 v13, null, s15, v13, vcc_lo
	v_cmp_le_u32_e32 vcc_lo, s14, v18
	v_subrev_co_ci_u32_e64 v13, null, 0, v13, s0
	v_cndmask_b32_e64 v17, 0, -1, vcc_lo
	v_cmp_le_u32_e32 vcc_lo, s15, v13
	v_cndmask_b32_e64 v18, 0, -1, vcc_lo
	v_cmp_le_u32_e32 vcc_lo, s14, v6
	;; [unrolled: 2-line block ×3, first 2 shown]
	v_cndmask_b32_e64 v19, 0, -1, vcc_lo
	v_cmp_eq_u32_e32 vcc_lo, s15, v13
	v_cndmask_b32_e32 v13, v18, v17, vcc_lo
	v_add_co_u32 v17, vcc_lo, v10, 1
	v_add_co_ci_u32_e64 v18, null, 0, v11, vcc_lo
	v_cmp_eq_u32_e32 vcc_lo, s15, v7
	v_cndmask_b32_e32 v6, v19, v6, vcc_lo
	v_cmp_ne_u32_e32 vcc_lo, 0, v13
	v_xor_b32_e32 v13, s6, v15
	v_cmp_ne_u32_e64 s0, 0, v6
	v_cndmask_b32_e32 v6, v17, v14, vcc_lo
	v_cndmask_b32_e32 v7, v18, v16, vcc_lo
	v_cndmask_b32_e64 v6, v10, v6, s0
	v_cndmask_b32_e64 v7, v11, v7, s0
	v_xor_b32_e32 v6, v6, v13
	v_xor_b32_e32 v7, v7, v13
	v_sub_co_u32 v6, vcc_lo, v6, v13
	v_sub_co_ci_u32_e64 v7, null, v7, v13, vcc_lo
.LBB2_10:
	s_andn2_saveexec_b32 s0, s1
	s_cbranch_execz .LBB2_12
; %bb.11:
	v_cvt_f32_u32_e32 v6, s12
	s_sub_i32 s1, 0, s12
	v_rcp_iflag_f32_e32 v6, v6
	v_mul_f32_e32 v6, 0x4f7ffffe, v6
	v_cvt_u32_f32_e32 v6, v6
	v_mul_lo_u32 v7, s1, v6
	v_mul_hi_u32 v7, v6, v7
	v_add_nc_u32_e32 v6, v6, v7
	v_mul_hi_u32 v6, v2, v6
	v_mul_lo_u32 v7, v6, s12
	v_add_nc_u32_e32 v10, 1, v6
	v_sub_nc_u32_e32 v7, v2, v7
	v_subrev_nc_u32_e32 v11, s12, v7
	v_cmp_le_u32_e32 vcc_lo, s12, v7
	v_cndmask_b32_e32 v7, v7, v11, vcc_lo
	v_cndmask_b32_e32 v6, v6, v10, vcc_lo
	v_cmp_le_u32_e32 vcc_lo, s12, v7
	v_add_nc_u32_e32 v10, 1, v6
	v_mov_b32_e32 v7, 0
	v_cndmask_b32_e32 v6, v6, v10, vcc_lo
.LBB2_12:
	s_or_b32 exec_lo, exec_lo, s0
	v_mul_lo_u32 v13, v7, s12
	v_mul_lo_u32 v14, v6, s13
	v_mad_u64_u32 v[10:11], null, v6, s12, 0
	v_add3_u32 v11, v11, v14, v13
	v_sub_co_u32 v2, vcc_lo, v2, v10
	v_sub_co_ci_u32_e64 v14, null, v12, v11, vcc_lo
	v_mov_b32_e32 v12, 0
	v_or_b32_e32 v13, s3, v14
	v_cmp_ne_u64_e32 vcc_lo, 0, v[12:13]
                                        ; implicit-def: $vgpr12_vgpr13
	s_and_saveexec_b32 s0, vcc_lo
	s_xor_b32 s1, exec_lo, s0
	s_cbranch_execz .LBB2_14
; %bb.13:
	s_ashr_i32 s6, s3, 31
	v_ashrrev_i32_e32 v16, 31, v14
	s_add_u32 s12, s2, s6
	s_mov_b32 s7, s6
	s_addc_u32 s13, s3, s6
	s_xor_b64 s[12:13], s[12:13], s[6:7]
	v_add_co_u32 v2, vcc_lo, v2, v16
	v_cvt_f32_u32_e32 v3, s12
	v_cvt_f32_u32_e32 v12, s13
	s_sub_u32 s9, 0, s12
	s_subb_u32 s14, 0, s13
	v_add_co_ci_u32_e64 v13, null, v14, v16, vcc_lo
	v_fmamk_f32 v3, v12, 0x4f800000, v3
	v_xor_b32_e32 v17, v2, v16
	v_xor_b32_e32 v18, v13, v16
	v_rcp_f32_e32 v3, v3
	v_mul_f32_e32 v3, 0x5f7ffffc, v3
	v_mul_f32_e32 v12, 0x2f800000, v3
	v_trunc_f32_e32 v12, v12
	v_fmamk_f32 v3, v12, 0xcf800000, v3
	v_cvt_u32_f32_e32 v12, v12
	v_cvt_u32_f32_e32 v3, v3
	v_readfirstlane_b32 s0, v12
	v_readfirstlane_b32 s7, v3
	s_mul_i32 s15, s9, s0
	s_mul_hi_u32 s17, s9, s7
	s_mul_i32 s16, s14, s7
	s_add_i32 s15, s17, s15
	s_mul_i32 s18, s9, s7
	s_add_i32 s15, s15, s16
	s_mul_hi_u32 s17, s7, s18
	s_mul_i32 s20, s7, s15
	s_mul_hi_u32 s19, s0, s18
	s_mul_i32 s16, s0, s18
	s_mul_hi_u32 s18, s7, s15
	s_add_u32 s17, s17, s20
	s_addc_u32 s18, 0, s18
	s_mul_hi_u32 s21, s0, s15
	s_add_u32 s16, s17, s16
	s_mul_i32 s15, s0, s15
	s_addc_u32 s16, s18, s19
	s_addc_u32 s17, s21, 0
	s_add_u32 s15, s16, s15
	s_addc_u32 s16, 0, s17
	s_add_u32 s7, s7, s15
	s_cselect_b32 s15, -1, 0
	s_mul_hi_u32 s17, s9, s7
	s_cmp_lg_u32 s15, 0
	s_mul_i32 s15, s9, s7
	s_addc_u32 s0, s0, s16
	s_mul_i32 s14, s14, s7
	s_mul_i32 s9, s9, s0
	s_mul_hi_u32 s16, s7, s15
	s_add_i32 s9, s17, s9
	s_mul_hi_u32 s17, s0, s15
	s_add_i32 s9, s9, s14
	s_mul_i32 s14, s0, s15
	s_mul_i32 s19, s7, s9
	s_mul_hi_u32 s18, s7, s9
	s_add_u32 s16, s16, s19
	s_addc_u32 s18, 0, s18
	s_mul_hi_u32 s15, s0, s9
	s_add_u32 s14, s16, s14
	s_mul_i32 s9, s0, s9
	s_addc_u32 s14, s18, s17
	s_addc_u32 s15, s15, 0
	s_add_u32 s9, s14, s9
	s_addc_u32 s14, 0, s15
	s_add_u32 s7, s7, s9
	s_cselect_b32 s9, -1, 0
	v_mul_hi_u32 v19, v17, s7
	s_cmp_lg_u32 s9, 0
	v_mad_u64_u32 v[12:13], null, v18, s7, 0
	s_addc_u32 s0, s0, s14
	v_mad_u64_u32 v[2:3], null, v17, s0, 0
	v_mad_u64_u32 v[14:15], null, v18, s0, 0
	v_add_co_u32 v2, vcc_lo, v19, v2
	v_add_co_ci_u32_e64 v3, null, 0, v3, vcc_lo
	v_add_co_u32 v2, vcc_lo, v2, v12
	v_add_co_ci_u32_e32 v2, vcc_lo, v3, v13, vcc_lo
	v_add_co_ci_u32_e32 v3, vcc_lo, 0, v15, vcc_lo
	v_add_co_u32 v12, vcc_lo, v2, v14
	v_add_co_ci_u32_e64 v13, null, 0, v3, vcc_lo
	v_mul_lo_u32 v14, s13, v12
	v_mad_u64_u32 v[2:3], null, s12, v12, 0
	v_mul_lo_u32 v15, s12, v13
	v_sub_co_u32 v2, vcc_lo, v17, v2
	v_add3_u32 v3, v3, v15, v14
	v_add_co_u32 v15, s0, v12, 2
	v_add_co_ci_u32_e64 v17, null, 0, v13, s0
	v_sub_nc_u32_e32 v14, v18, v3
	v_sub_co_u32 v19, s0, v2, s12
	v_sub_co_ci_u32_e64 v3, null, v18, v3, vcc_lo
	v_subrev_co_ci_u32_e64 v14, null, s13, v14, vcc_lo
	v_cmp_le_u32_e32 vcc_lo, s12, v19
	v_subrev_co_ci_u32_e64 v14, null, 0, v14, s0
	v_cndmask_b32_e64 v18, 0, -1, vcc_lo
	v_cmp_le_u32_e32 vcc_lo, s13, v14
	v_cndmask_b32_e64 v19, 0, -1, vcc_lo
	v_cmp_le_u32_e32 vcc_lo, s12, v2
	;; [unrolled: 2-line block ×3, first 2 shown]
	v_cndmask_b32_e64 v20, 0, -1, vcc_lo
	v_cmp_eq_u32_e32 vcc_lo, s13, v14
	v_cndmask_b32_e32 v14, v19, v18, vcc_lo
	v_add_co_u32 v18, vcc_lo, v12, 1
	v_add_co_ci_u32_e64 v19, null, 0, v13, vcc_lo
	v_cmp_eq_u32_e32 vcc_lo, s13, v3
	v_cndmask_b32_e32 v2, v20, v2, vcc_lo
	v_cmp_ne_u32_e32 vcc_lo, 0, v14
	v_xor_b32_e32 v14, s6, v16
	v_cmp_ne_u32_e64 s0, 0, v2
	v_cndmask_b32_e32 v2, v18, v15, vcc_lo
	v_cndmask_b32_e32 v3, v19, v17, vcc_lo
	v_cndmask_b32_e64 v2, v12, v2, s0
	v_cndmask_b32_e64 v3, v13, v3, s0
	v_xor_b32_e32 v2, v2, v14
	v_xor_b32_e32 v3, v3, v14
	v_sub_co_u32 v12, vcc_lo, v2, v14
	v_sub_co_ci_u32_e64 v13, null, v3, v14, vcc_lo
                                        ; implicit-def: $vgpr3
                                        ; implicit-def: $vgpr2
.LBB2_14:
	s_andn2_saveexec_b32 s0, s1
	s_cbranch_execz .LBB2_16
; %bb.15:
	v_rcp_iflag_f32_e32 v3, v3
	s_sub_i32 s1, 0, s2
	v_mul_f32_e32 v3, 0x4f7ffffe, v3
	v_cvt_u32_f32_e32 v3, v3
	v_mul_lo_u32 v12, s1, v3
	v_mul_hi_u32 v12, v3, v12
	v_add_nc_u32_e32 v3, v3, v12
	v_mul_hi_u32 v3, v2, v3
	v_mul_lo_u32 v12, v3, s2
	v_sub_nc_u32_e32 v2, v2, v12
	v_add_nc_u32_e32 v12, 1, v3
	v_subrev_nc_u32_e32 v13, s2, v2
	v_cmp_le_u32_e32 vcc_lo, s2, v2
	v_cndmask_b32_e32 v2, v2, v13, vcc_lo
	v_cndmask_b32_e32 v3, v3, v12, vcc_lo
	v_mov_b32_e32 v13, 0
	v_cmp_le_u32_e32 vcc_lo, s2, v2
	v_add_nc_u32_e32 v12, 1, v3
	v_cndmask_b32_e32 v12, v3, v12, vcc_lo
.LBB2_16:
	s_or_b32 exec_lo, exec_lo, s0
	s_clause 0x5
	s_load_dwordx8 s[36:43], s[4:5], 0xf8
	s_load_dwordx4 s[52:55], s[4:5], 0x0
	s_load_dwordx8 s[44:51], s[4:5], 0x18
	s_load_dwordx16 s[12:27], s[4:5], 0xb0
	s_load_dword s0, s[4:5], 0x118
	s_load_dwordx2 s[4:5], s[4:5], 0xf0
	s_mov_b32 s6, 0
	s_mov_b32 s9, s6
	s_waitcnt lgkmcnt(0)
	s_ashr_i32 s1, s42, 31
	v_mul_lo_u32 v16, v9, s42
	v_mad_u64_u32 v[2:3], null, v8, s42, 0
	v_mul_lo_u32 v18, v8, s1
	s_ashr_i32 s7, s39, 31
	v_mad_u64_u32 v[14:15], null, v12, s43, 0
	s_ashr_i32 s33, s36, 31
	s_mov_b32 s58, s36
	v_sub_co_u32 v2, vcc_lo, v2, s39
	v_add3_u32 v3, v3, v18, v16
	s_ashr_i32 s36, s43, 31
	v_mul_lo_u32 v17, v13, s43
	v_mul_lo_u32 v16, v12, s3
	;; [unrolled: 1-line block ×3, first 2 shown]
	v_subrev_co_ci_u32_e64 v3, null, s7, v3, vcc_lo
	v_add_co_u32 v4, vcc_lo, v10, v4
	v_add_co_ci_u32_e64 v5, null, v11, v5, vcc_lo
	v_mul_lo_u32 v19, v12, s36
	s_ashr_i32 s36, s0, 31
	v_mul_lo_u32 v20, v7, s0
	v_mad_u64_u32 v[10:11], null, v12, s2, v[4:5]
	v_mul_lo_u32 v21, v6, s36
	v_mad_u64_u32 v[6:7], null, v6, s0, 0
	v_sub_co_u32 v4, vcc_lo, v14, s40
	v_cvt_f32_u32_e32 v12, s20
	v_cvt_f32_u32_e32 v14, s28
	v_add3_u32 v11, v13, v11, v16
	v_add3_u32 v15, v15, v19, v17
	;; [unrolled: 1-line block ×3, first 2 shown]
	v_rcp_iflag_f32_e32 v12, v12
	v_rcp_iflag_f32_e32 v13, v14
	s_ashr_i32 s1, s40, 31
	s_ashr_i32 s0, s41, 31
	v_subrev_co_ci_u32_e64 v5, null, s1, v15, vcc_lo
	v_sub_co_u32 v6, vcc_lo, v6, s41
	v_subrev_co_ci_u32_e64 v7, null, s0, v7, vcc_lo
	v_add_co_u32 v8, vcc_lo, v10, v8
	v_add_co_ci_u32_e64 v9, null, v11, v9, vcc_lo
	v_mul_f32_e32 v10, 0x4f7ffffe, v12
	v_mul_f32_e32 v11, 0x4f7ffffe, v13
	v_cmp_gt_i64_e64 s39, s[18:19], s[8:9]
	v_mov_b32_e32 v20, 0
	s_ashr_i32 s59, s37, 31
	v_cvt_u32_f32_e32 v21, v10
	v_cvt_u32_f32_e32 v22, v11
	s_ashr_i32 s61, s38, 31
	s_sub_u32 s62, 0, s20
	s_mov_b32 s60, s37
	s_subb_u32 s63, 0, s21
	s_branch .LBB2_18
.LBB2_17:                               ;   in Loop: Header=BB2_18 Depth=1
	s_add_u32 s10, s10, 0xffff
	s_addc_u32 s11, s11, 0
	v_cmp_ge_i64_e64 s0, s[10:11], s[30:31]
	s_and_b32 vcc_lo, exec_lo, s0
	s_cbranch_vccnz .LBB2_39
.LBB2_18:                               ; =>This Loop Header: Depth=1
                                        ;     Child Loop BB2_21 Depth 2
	s_andn2_b32 vcc_lo, exec_lo, s39
	s_cbranch_vccnz .LBB2_17
; %bb.19:                               ;   in Loop: Header=BB2_18 Depth=1
	v_mad_u64_u32 v[12:13], null, s10, s58, v[2:3]
	s_mul_i32 s0, s11, s58
	s_mul_i32 s1, s10, s33
	v_mad_u64_u32 v[10:11], null, s10, s34, v[8:9]
	s_mul_i32 s2, s11, s34
	s_mul_i32 s3, s10, s35
	v_add3_u32 v13, s1, s0, v13
	v_mul_lo_u32 v16, v12, s5
	v_mad_u64_u32 v[14:15], null, v12, s4, 0
	v_add3_u32 v11, s3, s2, v11
	v_mul_lo_u32 v17, v13, s4
	v_cmp_gt_i64_e64 s0, 0, v[12:13]
	v_cmp_gt_i64_e64 s1, s[50:51], v[12:13]
	s_mov_b64 s[36:37], s[8:9]
	v_add3_u32 v15, v15, v16, v17
	v_lshlrev_b64 v[12:13], 2, v[14:15]
	s_branch .LBB2_21
.LBB2_20:                               ;   in Loop: Header=BB2_21 Depth=2
	s_or_b32 exec_lo, exec_lo, s2
	s_add_u32 s36, s36, 0xffff
	s_addc_u32 s37, s37, 0
	v_cmp_ge_i64_e64 s2, s[36:37], s[18:19]
	s_and_b32 vcc_lo, exec_lo, s2
	s_cbranch_vccnz .LBB2_17
.LBB2_21:                               ;   Parent Loop BB2_18 Depth=1
                                        ; =>  This Inner Loop Header: Depth=2
	s_or_b64 s[2:3], s[36:37], s[20:21]
	s_mov_b32 s7, s3
	s_cmp_lg_u64 s[6:7], 0
	s_cbranch_scc0 .LBB2_36
; %bb.22:                               ;   in Loop: Header=BB2_21 Depth=2
	s_ashr_i32 s2, s21, 31
	s_add_u32 s40, s20, s2
	s_mov_b32 s3, s2
	s_addc_u32 s41, s21, s2
	s_xor_b64 s[40:41], s[40:41], s[2:3]
	v_cvt_f32_u32_e32 v14, s40
	v_cvt_f32_u32_e32 v15, s41
	s_sub_u32 s43, 0, s40
	s_subb_u32 s56, 0, s41
	v_fmac_f32_e32 v14, 0x4f800000, v15
	v_rcp_f32_e32 v14, v14
	v_mul_f32_e32 v14, 0x5f7ffffc, v14
	v_mul_f32_e32 v15, 0x2f800000, v14
	v_trunc_f32_e32 v15, v15
	v_fmac_f32_e32 v14, 0xcf800000, v15
	v_cvt_u32_f32_e32 v15, v15
	v_cvt_u32_f32_e32 v14, v14
	v_readfirstlane_b32 s7, v15
	v_readfirstlane_b32 s42, v14
	s_mul_i32 s57, s43, s7
	s_mul_hi_u32 s65, s43, s42
	s_mul_i32 s64, s56, s42
	s_add_i32 s57, s65, s57
	s_mul_i32 s66, s43, s42
	s_add_i32 s57, s57, s64
	s_mul_hi_u32 s65, s42, s66
	s_mul_i32 s68, s42, s57
	s_mul_hi_u32 s67, s7, s66
	s_mul_i32 s64, s7, s66
	s_mul_hi_u32 s66, s42, s57
	s_add_u32 s65, s65, s68
	s_addc_u32 s66, 0, s66
	s_mul_hi_u32 s69, s7, s57
	s_add_u32 s64, s65, s64
	s_mul_i32 s57, s7, s57
	s_addc_u32 s64, s66, s67
	s_addc_u32 s65, s69, 0
	s_add_u32 s57, s64, s57
	s_addc_u32 s64, 0, s65
	s_add_u32 s42, s42, s57
	s_cselect_b32 s57, -1, 0
	s_mul_hi_u32 s65, s43, s42
	s_cmp_lg_u32 s57, 0
	s_mul_i32 s57, s43, s42
	s_addc_u32 s7, s7, s64
	s_mul_i32 s56, s56, s42
	s_mul_i32 s43, s43, s7
	s_mul_hi_u32 s64, s42, s57
	s_add_i32 s43, s65, s43
	s_mul_hi_u32 s65, s7, s57
	s_add_i32 s43, s43, s56
	s_mul_i32 s56, s7, s57
	s_mul_i32 s67, s42, s43
	s_mul_hi_u32 s66, s42, s43
	s_add_u32 s64, s64, s67
	s_addc_u32 s66, 0, s66
	s_mul_hi_u32 s57, s7, s43
	s_add_u32 s56, s64, s56
	s_mul_i32 s43, s7, s43
	s_addc_u32 s56, s66, s65
	s_addc_u32 s57, s57, 0
	s_add_u32 s43, s56, s43
	s_addc_u32 s56, 0, s57
	s_add_u32 s64, s42, s43
	s_cselect_b32 s42, -1, 0
	s_cmp_lg_u32 s42, 0
	s_addc_u32 s7, s7, s56
	s_ashr_i32 s42, s37, 31
	s_add_u32 s56, s36, s42
	s_mov_b32 s43, s42
	s_addc_u32 s57, s37, s42
	s_xor_b64 s[56:57], s[56:57], s[42:43]
	s_mul_i32 s66, s56, s7
	s_mul_hi_u32 s67, s56, s64
	s_mul_hi_u32 s65, s56, s7
	;; [unrolled: 1-line block ×3, first 2 shown]
	s_mul_i32 s64, s57, s64
	s_add_u32 s66, s67, s66
	s_addc_u32 s65, 0, s65
	s_mul_hi_u32 s68, s57, s7
	s_add_u32 s64, s66, s64
	s_mul_i32 s7, s57, s7
	s_addc_u32 s64, s65, s69
	s_addc_u32 s65, s68, 0
	s_add_u32 s7, s64, s7
	s_addc_u32 s64, 0, s65
	s_mul_hi_u32 s65, s40, s7
	s_mul_i32 s66, s40, s64
	s_mul_i32 s67, s41, s7
	s_add_i32 s65, s65, s66
	s_mul_i32 s66, s40, s7
	s_add_i32 s65, s65, s67
	s_sub_i32 s67, s57, s65
	s_sub_u32 s56, s56, s66
	s_cselect_b32 s66, -1, 0
	s_cmp_lg_u32 s66, 0
	s_subb_u32 s67, s67, s41
	s_sub_u32 s68, s56, s40
	s_cselect_b32 s69, -1, 0
	s_cmp_lg_u32 s69, 0
	s_subb_u32 s67, s67, 0
	s_cmp_ge_u32 s67, s41
	s_cselect_b32 s69, -1, 0
	s_cmp_ge_u32 s68, s40
	s_cselect_b32 s68, -1, 0
	s_cmp_eq_u32 s67, s41
	s_cselect_b32 s67, s68, s69
	s_add_u32 s68, s7, 1
	s_addc_u32 s69, s64, 0
	s_add_u32 s70, s7, 2
	s_addc_u32 s71, s64, 0
	s_cmp_lg_u32 s67, 0
	s_cselect_b32 s67, s70, s68
	s_cselect_b32 s68, s71, s69
	s_cmp_lg_u32 s66, 0
	s_subb_u32 s57, s57, s65
	s_cmp_ge_u32 s57, s41
	s_cselect_b32 s65, -1, 0
	s_cmp_ge_u32 s56, s40
	s_cselect_b32 s40, -1, 0
	s_cmp_eq_u32 s57, s41
	s_cselect_b32 s40, s40, s65
	s_cmp_lg_u32 s40, 0
	s_cselect_b32 s41, s68, s64
	s_cselect_b32 s40, s67, s7
	s_xor_b64 s[2:3], s[42:43], s[2:3]
	s_xor_b64 s[40:41], s[40:41], s[2:3]
	s_sub_u32 s40, s40, s2
	s_subb_u32 s41, s41, s3
	s_cbranch_execnz .LBB2_24
.LBB2_23:                               ;   in Loop: Header=BB2_21 Depth=2
	v_readfirstlane_b32 s2, v21
	s_sub_i32 s3, 0, s20
	s_mov_b32 s41, s6
	s_mul_i32 s3, s3, s2
	s_mul_hi_u32 s3, s2, s3
	s_add_i32 s2, s2, s3
	s_mul_hi_u32 s2, s36, s2
	s_mul_i32 s3, s2, s20
	s_add_i32 s7, s2, 1
	s_sub_i32 s3, s36, s3
	s_sub_i32 s40, s3, s20
	s_cmp_ge_u32 s3, s20
	s_cselect_b32 s2, s7, s2
	s_cselect_b32 s3, s40, s3
	s_add_i32 s7, s2, 1
	s_cmp_ge_u32 s3, s20
	s_cselect_b32 s40, s7, s2
.LBB2_24:                               ;   in Loop: Header=BB2_21 Depth=2
	s_mul_i32 s2, s62, s41
	s_mul_hi_u32 s3, s62, s40
	s_mul_i32 s7, s62, s40
	s_add_i32 s2, s3, s2
	s_mul_i32 s3, s63, s40
	s_add_i32 s3, s2, s3
	s_add_u32 s2, s36, s7
	s_addc_u32 s3, s37, s3
	s_or_b64 s[42:43], s[2:3], s[28:29]
	s_mov_b32 s7, s43
	s_cmp_lg_u64 s[6:7], 0
	s_cbranch_scc0 .LBB2_37
; %bb.25:                               ;   in Loop: Header=BB2_21 Depth=2
	s_ashr_i32 s42, s29, 31
	s_add_u32 s56, s28, s42
	s_mov_b32 s43, s42
	s_addc_u32 s57, s29, s42
	s_xor_b64 s[56:57], s[56:57], s[42:43]
	v_cvt_f32_u32_e32 v14, s56
	v_cvt_f32_u32_e32 v15, s57
	s_sub_u32 s65, 0, s56
	s_subb_u32 s66, 0, s57
	v_fmac_f32_e32 v14, 0x4f800000, v15
	v_rcp_f32_e32 v14, v14
	v_mul_f32_e32 v14, 0x5f7ffffc, v14
	v_mul_f32_e32 v15, 0x2f800000, v14
	v_trunc_f32_e32 v15, v15
	v_fmac_f32_e32 v14, 0xcf800000, v15
	v_cvt_u32_f32_e32 v15, v15
	v_cvt_u32_f32_e32 v14, v14
	v_readfirstlane_b32 s7, v15
	v_readfirstlane_b32 s64, v14
	s_mul_i32 s67, s65, s7
	s_mul_hi_u32 s69, s65, s64
	s_mul_i32 s68, s66, s64
	s_add_i32 s67, s69, s67
	s_mul_i32 s70, s65, s64
	s_add_i32 s67, s67, s68
	s_mul_hi_u32 s69, s64, s70
	s_mul_i32 s72, s64, s67
	s_mul_hi_u32 s71, s7, s70
	s_mul_i32 s68, s7, s70
	s_mul_hi_u32 s70, s64, s67
	s_add_u32 s69, s69, s72
	s_addc_u32 s70, 0, s70
	s_mul_hi_u32 s73, s7, s67
	s_add_u32 s68, s69, s68
	s_mul_i32 s67, s7, s67
	s_addc_u32 s68, s70, s71
	s_addc_u32 s69, s73, 0
	s_add_u32 s67, s68, s67
	s_addc_u32 s68, 0, s69
	s_add_u32 s64, s64, s67
	s_cselect_b32 s67, -1, 0
	s_mul_hi_u32 s69, s65, s64
	s_cmp_lg_u32 s67, 0
	s_mul_i32 s67, s65, s64
	s_addc_u32 s7, s7, s68
	s_mul_i32 s66, s66, s64
	s_mul_i32 s65, s65, s7
	s_mul_hi_u32 s68, s64, s67
	s_add_i32 s65, s69, s65
	s_mul_hi_u32 s69, s7, s67
	s_add_i32 s65, s65, s66
	s_mul_i32 s66, s7, s67
	s_mul_i32 s71, s64, s65
	s_mul_hi_u32 s70, s64, s65
	s_add_u32 s68, s68, s71
	s_addc_u32 s70, 0, s70
	s_mul_hi_u32 s67, s7, s65
	s_add_u32 s66, s68, s66
	s_mul_i32 s65, s7, s65
	s_addc_u32 s66, s70, s69
	s_addc_u32 s67, s67, 0
	s_add_u32 s65, s66, s65
	s_addc_u32 s66, 0, s67
	s_add_u32 s68, s64, s65
	s_cselect_b32 s64, -1, 0
	s_cmp_lg_u32 s64, 0
	s_addc_u32 s7, s7, s66
	s_ashr_i32 s64, s3, 31
	s_add_u32 s66, s2, s64
	s_mov_b32 s65, s64
	s_addc_u32 s67, s3, s64
	s_xor_b64 s[66:67], s[66:67], s[64:65]
	s_mul_i32 s69, s66, s7
	s_mul_hi_u32 s70, s66, s68
	s_mul_hi_u32 s3, s66, s7
	;; [unrolled: 1-line block ×3, first 2 shown]
	s_mul_i32 s68, s67, s68
	s_add_u32 s69, s70, s69
	s_addc_u32 s3, 0, s3
	s_mul_hi_u32 s71, s67, s7
	s_add_u32 s68, s69, s68
	s_mul_i32 s7, s67, s7
	s_addc_u32 s3, s3, s72
	s_addc_u32 s68, s71, 0
	s_add_u32 s3, s3, s7
	s_addc_u32 s7, 0, s68
	s_mul_hi_u32 s68, s56, s3
	s_mul_i32 s69, s56, s7
	s_mul_i32 s70, s57, s3
	s_add_i32 s68, s68, s69
	s_mul_i32 s69, s56, s3
	s_add_i32 s68, s68, s70
	s_sub_i32 s70, s67, s68
	s_sub_u32 s66, s66, s69
	s_cselect_b32 s69, -1, 0
	s_cmp_lg_u32 s69, 0
	s_subb_u32 s70, s70, s57
	s_sub_u32 s71, s66, s56
	s_cselect_b32 s72, -1, 0
	s_cmp_lg_u32 s72, 0
	s_subb_u32 s70, s70, 0
	s_cmp_ge_u32 s70, s57
	s_cselect_b32 s72, -1, 0
	s_cmp_ge_u32 s71, s56
	s_cselect_b32 s71, -1, 0
	s_cmp_eq_u32 s70, s57
	s_cselect_b32 s70, s71, s72
	s_add_u32 s71, s3, 1
	s_addc_u32 s72, s7, 0
	s_add_u32 s73, s3, 2
	s_addc_u32 s74, s7, 0
	s_cmp_lg_u32 s70, 0
	s_cselect_b32 s70, s73, s71
	s_cselect_b32 s71, s74, s72
	s_cmp_lg_u32 s69, 0
	s_subb_u32 s67, s67, s68
	s_cmp_ge_u32 s67, s57
	s_cselect_b32 s68, -1, 0
	s_cmp_ge_u32 s66, s56
	s_cselect_b32 s56, -1, 0
	s_cmp_eq_u32 s67, s57
	s_cselect_b32 s56, s56, s68
	s_cmp_lg_u32 s56, 0
	s_cselect_b32 s57, s71, s7
	s_cselect_b32 s56, s70, s3
	s_xor_b64 s[42:43], s[64:65], s[42:43]
	s_xor_b64 s[56:57], s[56:57], s[42:43]
	s_sub_u32 s42, s56, s42
	s_subb_u32 s43, s57, s43
	s_cbranch_execnz .LBB2_27
.LBB2_26:                               ;   in Loop: Header=BB2_21 Depth=2
	v_readfirstlane_b32 s3, v22
	s_sub_i32 s7, 0, s28
	s_mov_b32 s43, s6
	s_mul_i32 s7, s7, s3
	s_mul_hi_u32 s7, s3, s7
	s_add_i32 s3, s3, s7
	s_mul_hi_u32 s3, s2, s3
	s_mul_i32 s7, s3, s28
	s_sub_i32 s2, s2, s7
	s_add_i32 s7, s3, 1
	s_sub_i32 s42, s2, s28
	s_cmp_ge_u32 s2, s28
	s_cselect_b32 s3, s7, s3
	s_cselect_b32 s2, s42, s2
	s_add_i32 s7, s3, 1
	s_cmp_ge_u32 s2, s28
	s_cselect_b32 s42, s7, s3
.LBB2_27:                               ;   in Loop: Header=BB2_21 Depth=2
	s_or_b64 s[2:3], s[36:37], s[28:29]
	s_mov_b32 s7, s3
	s_cmp_lg_u64 s[6:7], 0
	s_cbranch_scc0 .LBB2_38
; %bb.28:                               ;   in Loop: Header=BB2_21 Depth=2
	s_ashr_i32 s2, s29, 31
	s_add_u32 s56, s28, s2
	s_mov_b32 s3, s2
	s_addc_u32 s57, s29, s2
	s_xor_b64 s[2:3], s[56:57], s[2:3]
	v_cvt_f32_u32_e32 v14, s2
	v_cvt_f32_u32_e32 v15, s3
	s_sub_u32 s57, 0, s2
	s_subb_u32 s64, 0, s3
	v_fmac_f32_e32 v14, 0x4f800000, v15
	v_rcp_f32_e32 v14, v14
	v_mul_f32_e32 v14, 0x5f7ffffc, v14
	v_mul_f32_e32 v15, 0x2f800000, v14
	v_trunc_f32_e32 v15, v15
	v_fmac_f32_e32 v14, 0xcf800000, v15
	v_cvt_u32_f32_e32 v15, v15
	v_cvt_u32_f32_e32 v14, v14
	v_readfirstlane_b32 s7, v15
	v_readfirstlane_b32 s56, v14
	s_mul_i32 s65, s57, s7
	s_mul_hi_u32 s67, s57, s56
	s_mul_i32 s66, s64, s56
	s_add_i32 s65, s67, s65
	s_mul_i32 s68, s57, s56
	s_add_i32 s65, s65, s66
	s_mul_hi_u32 s67, s56, s68
	s_mul_i32 s70, s56, s65
	s_mul_hi_u32 s69, s7, s68
	s_mul_i32 s66, s7, s68
	s_mul_hi_u32 s68, s56, s65
	s_add_u32 s67, s67, s70
	s_addc_u32 s68, 0, s68
	s_mul_hi_u32 s71, s7, s65
	s_add_u32 s66, s67, s66
	s_mul_i32 s65, s7, s65
	s_addc_u32 s66, s68, s69
	s_addc_u32 s67, s71, 0
	s_add_u32 s65, s66, s65
	s_addc_u32 s66, 0, s67
	s_add_u32 s56, s56, s65
	s_cselect_b32 s65, -1, 0
	s_mul_hi_u32 s67, s57, s56
	s_cmp_lg_u32 s65, 0
	s_mul_i32 s65, s57, s56
	s_addc_u32 s7, s7, s66
	s_mul_i32 s64, s64, s56
	s_mul_i32 s57, s57, s7
	s_mul_hi_u32 s66, s56, s65
	s_add_i32 s57, s67, s57
	s_mul_hi_u32 s67, s7, s65
	s_add_i32 s57, s57, s64
	s_mul_i32 s64, s7, s65
	s_mul_i32 s69, s56, s57
	s_mul_hi_u32 s68, s56, s57
	s_add_u32 s66, s66, s69
	s_addc_u32 s68, 0, s68
	s_mul_hi_u32 s65, s7, s57
	s_add_u32 s64, s66, s64
	s_mul_i32 s57, s7, s57
	s_addc_u32 s64, s68, s67
	s_addc_u32 s65, s65, 0
	s_add_u32 s57, s64, s57
	s_addc_u32 s64, 0, s65
	s_add_u32 s66, s56, s57
	s_cselect_b32 s56, -1, 0
	s_cmp_lg_u32 s56, 0
	s_addc_u32 s7, s7, s64
	s_ashr_i32 s64, s37, 31
	s_add_u32 s56, s36, s64
	s_mov_b32 s65, s64
	s_addc_u32 s57, s37, s64
	s_xor_b64 s[56:57], s[56:57], s[64:65]
	s_mul_i32 s68, s56, s7
	s_mul_hi_u32 s69, s56, s66
	s_mul_hi_u32 s67, s56, s7
	;; [unrolled: 1-line block ×3, first 2 shown]
	s_mul_i32 s66, s57, s66
	s_add_u32 s68, s69, s68
	s_addc_u32 s67, 0, s67
	s_mul_hi_u32 s70, s57, s7
	s_add_u32 s66, s68, s66
	s_mul_i32 s7, s57, s7
	s_addc_u32 s66, s67, s71
	s_addc_u32 s67, s70, 0
	s_add_u32 s7, s66, s7
	s_addc_u32 s66, 0, s67
	s_mul_hi_u32 s67, s2, s7
	s_mul_i32 s66, s2, s66
	s_mul_i32 s68, s3, s7
	s_add_i32 s66, s67, s66
	s_mul_i32 s7, s2, s7
	s_add_i32 s66, s66, s68
	s_sub_i32 s67, s57, s66
	s_sub_u32 s7, s56, s7
	s_cselect_b32 s56, -1, 0
	s_cmp_lg_u32 s56, 0
	s_subb_u32 s67, s67, s3
	s_sub_u32 s68, s7, s2
	s_cselect_b32 s69, -1, 0
	s_cmp_lg_u32 s69, 0
	s_subb_u32 s70, s67, 0
	s_cmp_ge_u32 s70, s3
	s_cselect_b32 s71, -1, 0
	s_cmp_ge_u32 s68, s2
	s_cselect_b32 s72, -1, 0
	s_cmp_eq_u32 s70, s3
	s_cselect_b32 s71, s72, s71
	s_cmp_lg_u32 s69, 0
	s_subb_u32 s67, s67, s3
	s_sub_u32 s69, s68, s2
	s_cselect_b32 s72, -1, 0
	s_cmp_lg_u32 s72, 0
	s_subb_u32 s67, s67, 0
	s_cmp_lg_u32 s71, 0
	s_cselect_b32 s68, s69, s68
	s_cselect_b32 s67, s67, s70
	s_cmp_lg_u32 s56, 0
	s_subb_u32 s56, s57, s66
	s_cmp_ge_u32 s56, s3
	s_cselect_b32 s57, -1, 0
	s_cmp_ge_u32 s7, s2
	s_cselect_b32 s2, -1, 0
	s_cmp_eq_u32 s56, s3
	s_cselect_b32 s2, s2, s57
	s_cmp_lg_u32 s2, 0
	s_cselect_b32 s3, s67, s56
	s_cselect_b32 s2, s68, s7
	s_xor_b64 s[2:3], s[2:3], s[64:65]
	s_sub_u32 s56, s2, s64
	s_subb_u32 s57, s3, s64
	s_cbranch_execnz .LBB2_30
.LBB2_29:                               ;   in Loop: Header=BB2_21 Depth=2
	v_readfirstlane_b32 s2, v22
	s_sub_i32 s3, 0, s28
	s_mov_b32 s57, s6
	s_mul_i32 s3, s3, s2
	s_mul_hi_u32 s3, s2, s3
	s_add_i32 s2, s2, s3
	s_mul_hi_u32 s2, s36, s2
	s_mul_i32 s2, s2, s28
	s_sub_i32 s2, s36, s2
	s_sub_i32 s3, s2, s28
	s_cmp_ge_u32 s2, s28
	s_cselect_b32 s2, s3, s2
	s_sub_i32 s3, s2, s28
	s_cmp_ge_u32 s2, s28
	s_cselect_b32 s56, s3, s2
.LBB2_30:                               ;   in Loop: Header=BB2_21 Depth=2
	v_mad_u64_u32 v[14:15], null, s40, s12, v[10:11]
	s_mul_i32 s2, s41, s12
	s_mul_i32 s3, s40, s13
	v_mad_u64_u32 v[16:17], null, s56, s60, v[4:5]
	s_mul_i32 s7, s42, s15
	s_mul_i32 s64, s56, s59
	v_add3_u32 v15, s3, s2, v15
	s_mul_i32 s3, s43, s14
	s_mul_i32 s2, s57, s60
	v_add3_u32 v17, s64, s2, v17
	v_mad_u64_u32 v[14:15], null, s42, s14, v[14:15]
	v_cmp_gt_i64_e32 vcc_lo, 0, v[16:17]
	v_cmp_le_i64_e64 s2, s[48:49], v[16:17]
	v_add3_u32 v15, s7, s3, v15
	s_mul_i32 s3, s57, s16
	s_mul_i32 s7, s56, s17
	s_or_b32 s2, vcc_lo, s2
	v_mad_u64_u32 v[14:15], null, s56, s16, v[14:15]
	v_add3_u32 v15, s7, s3, v15
	s_or_b32 s3, s2, s0
	s_xor_b32 s2, s3, -1
	s_and_saveexec_b32 s7, s2
	s_cbranch_execz .LBB2_34
; %bb.31:                               ;   in Loop: Header=BB2_21 Depth=2
	v_mad_u64_u32 v[18:19], null, s42, s38, v[6:7]
	s_mul_i32 s2, s43, s38
	s_mul_i32 s42, s42, s61
	v_add3_u32 v19, s42, s2, v19
	s_mov_b32 s42, -1
	v_cmp_lt_i64_e32 vcc_lo, -1, v[18:19]
	v_cmp_gt_i64_e64 s2, s[46:47], v[18:19]
	s_and_b32 s2, vcc_lo, s2
	s_and_b32 s43, s1, s2
	s_and_saveexec_b32 s2, s43
	s_cbranch_execz .LBB2_33
; %bb.32:                               ;   in Loop: Header=BB2_21 Depth=2
	v_mad_u64_u32 v[23:24], null, s40, s44, v[0:1]
	s_mul_i32 s41, s41, s44
	s_mul_i32 s40, s40, s45
	v_mul_lo_u32 v27, v19, s24
	v_mul_lo_u32 v28, v18, s25
	v_mad_u64_u32 v[18:19], null, v18, s24, 0
	v_add3_u32 v25, s40, s41, v24
	v_mul_lo_u32 v26, v23, s23
	v_mad_u64_u32 v[23:24], null, v23, s22, 0
	v_mul_lo_u32 v29, v17, s26
	v_mul_lo_u32 v25, v25, s22
	;; [unrolled: 1-line block ×3, first 2 shown]
	v_mad_u64_u32 v[16:17], null, v16, s26, 0
	v_add3_u32 v19, v19, v28, v27
	s_xor_b32 s42, exec_lo, -1
	v_add3_u32 v24, v24, v26, v25
	v_lshlrev_b64 v[18:19], 2, v[18:19]
	v_add3_u32 v17, v17, v30, v29
	v_lshlrev_b64 v[23:24], 2, v[23:24]
	v_lshlrev_b64 v[16:17], 2, v[16:17]
	v_add_co_u32 v23, vcc_lo, s52, v23
	v_add_co_ci_u32_e64 v24, null, s53, v24, vcc_lo
	v_add_co_u32 v18, vcc_lo, v23, v18
	v_add_co_ci_u32_e64 v19, null, v24, v19, vcc_lo
	;; [unrolled: 2-line block ×4, first 2 shown]
	global_load_dword v18, v[16:17], off
	v_lshlrev_b64 v[16:17], 1, v[14:15]
	v_add_co_u32 v16, vcc_lo, s54, v16
	v_add_co_ci_u32_e64 v17, null, s55, v17, vcc_lo
	s_waitcnt vmcnt(0)
	v_cvt_f16_f32_e32 v18, v18
	global_store_short v[16:17], v18, off
.LBB2_33:                               ;   in Loop: Header=BB2_21 Depth=2
	s_or_b32 exec_lo, exec_lo, s2
	s_andn2_b32 s2, s3, exec_lo
	s_and_b32 s3, s42, exec_lo
	s_or_b32 s3, s2, s3
.LBB2_34:                               ;   in Loop: Header=BB2_21 Depth=2
	s_or_b32 exec_lo, exec_lo, s7
	s_and_saveexec_b32 s2, s3
	s_cbranch_execz .LBB2_20
; %bb.35:                               ;   in Loop: Header=BB2_21 Depth=2
	v_lshlrev_b64 v[14:15], 1, v[14:15]
	v_add_co_u32 v14, vcc_lo, s54, v14
	v_add_co_ci_u32_e64 v15, null, s55, v15, vcc_lo
	global_store_short v[14:15], v20, off
	s_branch .LBB2_20
.LBB2_36:                               ;   in Loop: Header=BB2_21 Depth=2
                                        ; implicit-def: $sgpr40_sgpr41
	s_branch .LBB2_23
.LBB2_37:                               ;   in Loop: Header=BB2_21 Depth=2
                                        ; implicit-def: $sgpr42_sgpr43
	s_branch .LBB2_26
.LBB2_38:                               ;   in Loop: Header=BB2_21 Depth=2
                                        ; implicit-def: $sgpr56_sgpr57
	s_branch .LBB2_29
.LBB2_39:
	s_endpgm
.LBB2_40:
                                        ; implicit-def: $vgpr0_vgpr1
	s_branch .LBB2_3
.LBB2_41:
                                        ; implicit-def: $vgpr8_vgpr9
	v_cvt_f32_u32_e32 v3, s2
	s_branch .LBB2_7
	.section	.rodata,"a",@progbits
	.p2align	6, 0x0
	.amdhsa_kernel _ZL16im2col_3d_kernelI6__halfEvPKfPT_llllllllllllllllllllllllllllliiiiiiiii
		.amdhsa_group_segment_fixed_size 0
		.amdhsa_private_segment_fixed_size 0
		.amdhsa_kernarg_size 544
		.amdhsa_user_sgpr_count 6
		.amdhsa_user_sgpr_private_segment_buffer 1
		.amdhsa_user_sgpr_dispatch_ptr 0
		.amdhsa_user_sgpr_queue_ptr 0
		.amdhsa_user_sgpr_kernarg_segment_ptr 1
		.amdhsa_user_sgpr_dispatch_id 0
		.amdhsa_user_sgpr_flat_scratch_init 0
		.amdhsa_user_sgpr_private_segment_size 0
		.amdhsa_wavefront_size32 1
		.amdhsa_uses_dynamic_stack 0
		.amdhsa_system_sgpr_private_segment_wavefront_offset 0
		.amdhsa_system_sgpr_workgroup_id_x 1
		.amdhsa_system_sgpr_workgroup_id_y 1
		.amdhsa_system_sgpr_workgroup_id_z 1
		.amdhsa_system_sgpr_workgroup_info 0
		.amdhsa_system_vgpr_workitem_id 0
		.amdhsa_next_free_vgpr 31
		.amdhsa_next_free_sgpr 75
		.amdhsa_reserve_vcc 1
		.amdhsa_reserve_flat_scratch 0
		.amdhsa_float_round_mode_32 0
		.amdhsa_float_round_mode_16_64 0
		.amdhsa_float_denorm_mode_32 3
		.amdhsa_float_denorm_mode_16_64 3
		.amdhsa_dx10_clamp 1
		.amdhsa_ieee_mode 1
		.amdhsa_fp16_overflow 0
		.amdhsa_workgroup_processor_mode 1
		.amdhsa_memory_ordered 1
		.amdhsa_forward_progress 1
		.amdhsa_shared_vgpr_count 0
		.amdhsa_exception_fp_ieee_invalid_op 0
		.amdhsa_exception_fp_denorm_src 0
		.amdhsa_exception_fp_ieee_div_zero 0
		.amdhsa_exception_fp_ieee_overflow 0
		.amdhsa_exception_fp_ieee_underflow 0
		.amdhsa_exception_fp_ieee_inexact 0
		.amdhsa_exception_int_div_zero 0
	.end_amdhsa_kernel
	.section	.text._ZL16im2col_3d_kernelI6__halfEvPKfPT_llllllllllllllllllllllllllllliiiiiiiii,"axG",@progbits,_ZL16im2col_3d_kernelI6__halfEvPKfPT_llllllllllllllllllllllllllllliiiiiiiii,comdat
.Lfunc_end2:
	.size	_ZL16im2col_3d_kernelI6__halfEvPKfPT_llllllllllllllllllllllllllllliiiiiiiii, .Lfunc_end2-_ZL16im2col_3d_kernelI6__halfEvPKfPT_llllllllllllllllllllllllllllliiiiiiiii
                                        ; -- End function
	.set _ZL16im2col_3d_kernelI6__halfEvPKfPT_llllllllllllllllllllllllllllliiiiiiiii.num_vgpr, 31
	.set _ZL16im2col_3d_kernelI6__halfEvPKfPT_llllllllllllllllllllllllllllliiiiiiiii.num_agpr, 0
	.set _ZL16im2col_3d_kernelI6__halfEvPKfPT_llllllllllllllllllllllllllllliiiiiiiii.numbered_sgpr, 75
	.set _ZL16im2col_3d_kernelI6__halfEvPKfPT_llllllllllllllllllllllllllllliiiiiiiii.num_named_barrier, 0
	.set _ZL16im2col_3d_kernelI6__halfEvPKfPT_llllllllllllllllllllllllllllliiiiiiiii.private_seg_size, 0
	.set _ZL16im2col_3d_kernelI6__halfEvPKfPT_llllllllllllllllllllllllllllliiiiiiiii.uses_vcc, 1
	.set _ZL16im2col_3d_kernelI6__halfEvPKfPT_llllllllllllllllllllllllllllliiiiiiiii.uses_flat_scratch, 0
	.set _ZL16im2col_3d_kernelI6__halfEvPKfPT_llllllllllllllllllllllllllllliiiiiiiii.has_dyn_sized_stack, 0
	.set _ZL16im2col_3d_kernelI6__halfEvPKfPT_llllllllllllllllllllllllllllliiiiiiiii.has_recursion, 0
	.set _ZL16im2col_3d_kernelI6__halfEvPKfPT_llllllllllllllllllllllllllllliiiiiiiii.has_indirect_call, 0
	.section	.AMDGPU.csdata,"",@progbits
; Kernel info:
; codeLenInByte = 6184
; TotalNumSgprs: 77
; NumVgprs: 31
; ScratchSize: 0
; MemoryBound: 0
; FloatMode: 240
; IeeeMode: 1
; LDSByteSize: 0 bytes/workgroup (compile time only)
; SGPRBlocks: 0
; VGPRBlocks: 3
; NumSGPRsForWavesPerEU: 77
; NumVGPRsForWavesPerEU: 31
; Occupancy: 16
; WaveLimiterHint : 1
; COMPUTE_PGM_RSRC2:SCRATCH_EN: 0
; COMPUTE_PGM_RSRC2:USER_SGPR: 6
; COMPUTE_PGM_RSRC2:TRAP_HANDLER: 0
; COMPUTE_PGM_RSRC2:TGID_X_EN: 1
; COMPUTE_PGM_RSRC2:TGID_Y_EN: 1
; COMPUTE_PGM_RSRC2:TGID_Z_EN: 1
; COMPUTE_PGM_RSRC2:TIDIG_COMP_CNT: 0
	.section	.text._ZL16im2col_3d_kernelIfEvPKfPT_llllllllllllllllllllllllllllliiiiiiiii,"axG",@progbits,_ZL16im2col_3d_kernelIfEvPKfPT_llllllllllllllllllllllllllllliiiiiiiii,comdat
	.globl	_ZL16im2col_3d_kernelIfEvPKfPT_llllllllllllllllllllllllllllliiiiiiiii ; -- Begin function _ZL16im2col_3d_kernelIfEvPKfPT_llllllllllllllllllllllllllllliiiiiiiii
	.p2align	8
	.type	_ZL16im2col_3d_kernelIfEvPKfPT_llllllllllllllllllllllllllllliiiiiiiii,@function
_ZL16im2col_3d_kernelIfEvPKfPT_llllllllllllllllllllllllllllliiiiiiiii: ; @_ZL16im2col_3d_kernelIfEvPKfPT_llllllllllllllllllllllllllllliiiiiiiii
; %bb.0:
	s_clause 0x1
	s_load_dword s0, s[4:5], 0x12c
	s_load_dwordx2 s[34:35], s[4:5], 0xa0
	s_waitcnt lgkmcnt(0)
	s_and_b32 s0, s0, 0xffff
	v_mad_u64_u32 v[2:3], null, s6, s0, v[0:1]
	v_mov_b32_e32 v3, 0
	s_mov_b32 s0, exec_lo
	v_cmpx_gt_i64_e64 s[34:35], v[2:3]
	s_cbranch_execz .LBB3_37
; %bb.1:
	s_mov_b32 s10, s7
	s_load_dwordx2 s[6:7], s[4:5], 0x78
	s_mov_b32 s2, 0
	s_waitcnt lgkmcnt(0)
	s_mov_b32 s3, s7
	s_cmp_lg_u64 s[2:3], 0
	s_cbranch_scc0 .LBB3_38
; %bb.2:
	s_ashr_i32 s12, s7, 31
	v_add_co_u32 v7, s3, v2, 0
	s_add_u32 s0, s6, s12
	s_mov_b32 s13, s12
	s_addc_u32 s1, s7, s12
	v_add_co_ci_u32_e64 v8, null, 0, 0, s3
	s_xor_b64 s[14:15], s[0:1], s[12:13]
	v_cvt_f32_u32_e32 v0, s14
	v_cvt_f32_u32_e32 v1, s15
	s_sub_u32 s9, 0, s14
	s_subb_u32 s11, 0, s15
	v_fmamk_f32 v0, v1, 0x4f800000, v0
	v_rcp_f32_e32 v0, v0
	v_mul_f32_e32 v0, 0x5f7ffffc, v0
	v_mul_f32_e32 v1, 0x2f800000, v0
	v_trunc_f32_e32 v1, v1
	v_fmamk_f32 v0, v1, 0xcf800000, v0
	v_cvt_u32_f32_e32 v1, v1
	v_cvt_u32_f32_e32 v0, v0
	v_readfirstlane_b32 s0, v1
	v_readfirstlane_b32 s1, v0
	s_mul_i32 s13, s9, s0
	s_mul_hi_u32 s17, s9, s1
	s_mul_i32 s16, s11, s1
	s_add_i32 s13, s17, s13
	s_mul_i32 s18, s9, s1
	s_add_i32 s13, s13, s16
	s_mul_hi_u32 s17, s1, s18
	s_mul_i32 s20, s1, s13
	s_mul_hi_u32 s19, s0, s18
	s_mul_i32 s16, s0, s18
	s_mul_hi_u32 s18, s1, s13
	s_add_u32 s17, s17, s20
	s_addc_u32 s18, 0, s18
	s_mul_hi_u32 s21, s0, s13
	s_add_u32 s16, s17, s16
	s_mul_i32 s13, s0, s13
	s_addc_u32 s16, s18, s19
	s_addc_u32 s17, s21, 0
	s_add_u32 s13, s16, s13
	s_addc_u32 s16, 0, s17
	s_add_u32 s1, s1, s13
	s_cselect_b32 s13, -1, 0
	s_mul_hi_u32 s17, s9, s1
	s_cmp_lg_u32 s13, 0
	s_mul_i32 s13, s9, s1
	s_addc_u32 s0, s0, s16
	s_mul_i32 s11, s11, s1
	s_mul_i32 s9, s9, s0
	s_mul_hi_u32 s16, s1, s13
	s_add_i32 s9, s17, s9
	s_mul_hi_u32 s17, s0, s13
	s_add_i32 s9, s9, s11
	s_mul_i32 s11, s0, s13
	s_mul_i32 s19, s1, s9
	s_mul_hi_u32 s18, s1, s9
	s_add_u32 s16, s16, s19
	s_addc_u32 s18, 0, s18
	s_mul_hi_u32 s13, s0, s9
	s_add_u32 s11, s16, s11
	s_mul_i32 s9, s0, s9
	s_addc_u32 s11, s18, s17
	s_addc_u32 s13, s13, 0
	s_add_u32 s9, s11, s9
	s_addc_u32 s11, 0, s13
	s_add_u32 s1, s1, s9
	s_cselect_b32 s9, -1, 0
	v_mul_hi_u32 v9, v7, s1
	s_cmp_lg_u32 s9, 0
	v_mad_u64_u32 v[3:4], null, v8, s1, 0
	s_addc_u32 s0, s0, s11
	v_mad_u64_u32 v[0:1], null, v7, s0, 0
	v_mad_u64_u32 v[5:6], null, v8, s0, 0
	v_add_co_u32 v0, vcc_lo, v9, v0
	v_add_co_ci_u32_e64 v1, null, 0, v1, vcc_lo
	v_add_co_u32 v0, vcc_lo, v0, v3
	v_add_co_ci_u32_e32 v0, vcc_lo, v1, v4, vcc_lo
	v_add_co_ci_u32_e32 v1, vcc_lo, 0, v6, vcc_lo
	v_add_co_u32 v3, vcc_lo, v0, v5
	v_add_co_ci_u32_e64 v4, null, 0, v1, vcc_lo
	v_mul_lo_u32 v5, s15, v3
	v_mad_u64_u32 v[0:1], null, s14, v3, 0
	v_mul_lo_u32 v6, s14, v4
	v_sub_co_u32 v0, vcc_lo, v7, v0
	v_add3_u32 v1, v1, v6, v5
	v_add_co_u32 v6, s0, v3, 2
	v_add_co_ci_u32_e64 v7, null, 0, v4, s0
	v_sub_nc_u32_e32 v5, v8, v1
	v_sub_co_u32 v9, s0, v0, s14
	v_sub_co_ci_u32_e64 v1, null, v8, v1, vcc_lo
	v_subrev_co_ci_u32_e64 v5, null, s15, v5, vcc_lo
	v_cmp_le_u32_e32 vcc_lo, s14, v9
	v_subrev_co_ci_u32_e64 v5, null, 0, v5, s0
	v_cndmask_b32_e64 v8, 0, -1, vcc_lo
	v_cmp_eq_u32_e64 s0, s15, v1
	v_cmp_le_u32_e32 vcc_lo, s15, v5
	v_cndmask_b32_e64 v9, 0, -1, vcc_lo
	v_cmp_le_u32_e32 vcc_lo, s14, v0
	v_cndmask_b32_e64 v0, 0, -1, vcc_lo
	;; [unrolled: 2-line block ×3, first 2 shown]
	v_cmp_eq_u32_e32 vcc_lo, s15, v5
	v_cndmask_b32_e64 v0, v10, v0, s0
	v_cndmask_b32_e32 v5, v9, v8, vcc_lo
	v_add_co_u32 v8, vcc_lo, v3, 1
	v_add_co_ci_u32_e64 v9, null, 0, v4, vcc_lo
	v_cmp_ne_u32_e32 vcc_lo, 0, v5
	v_cndmask_b32_e32 v1, v9, v7, vcc_lo
	v_cndmask_b32_e32 v5, v8, v6, vcc_lo
	v_cmp_ne_u32_e32 vcc_lo, 0, v0
	v_cndmask_b32_e32 v0, v4, v1, vcc_lo
	v_cndmask_b32_e32 v1, v3, v5, vcc_lo
	v_xor_b32_e32 v3, s12, v0
	v_xor_b32_e32 v1, s12, v1
	v_sub_co_u32 v0, vcc_lo, v1, s12
	v_subrev_co_ci_u32_e64 v1, null, s12, v3, vcc_lo
	s_andn2_b32 vcc_lo, exec_lo, s2
	s_cbranch_vccnz .LBB3_4
.LBB3_3:
	v_cvt_f32_u32_e32 v0, s6
	s_sub_i32 s0, 0, s6
	v_rcp_iflag_f32_e32 v0, v0
	v_mul_f32_e32 v0, 0x4f7ffffe, v0
	v_cvt_u32_f32_e32 v0, v0
	v_mul_lo_u32 v1, s0, v0
	v_mul_hi_u32 v1, v0, v1
	v_add_nc_u32_e32 v0, v0, v1
	v_mul_hi_u32 v0, v2, v0
	v_mul_lo_u32 v1, v0, s6
	v_add_nc_u32_e32 v3, 1, v0
	v_sub_nc_u32_e32 v1, v2, v1
	v_subrev_nc_u32_e32 v4, s6, v1
	v_cmp_le_u32_e32 vcc_lo, s6, v1
	v_cndmask_b32_e32 v1, v1, v4, vcc_lo
	v_cndmask_b32_e32 v0, v0, v3, vcc_lo
	v_cmp_le_u32_e32 vcc_lo, s6, v1
	v_add_nc_u32_e32 v3, 1, v0
	v_mov_b32_e32 v1, 0
	v_cndmask_b32_e32 v0, v0, v3, vcc_lo
.LBB3_4:
	s_load_dwordx4 s[28:31], s[4:5], 0x60
	s_mov_b32 s11, 0
	s_waitcnt lgkmcnt(0)
	v_cmp_le_i64_e64 s0, s[30:31], s[10:11]
	s_and_b32 vcc_lo, exec_lo, s0
	s_cbranch_vccnz .LBB3_37
; %bb.5:
	s_load_dwordx2 s[2:3], s[4:5], 0x50
	s_mov_b32 s0, s11
	s_waitcnt lgkmcnt(0)
	s_mov_b32 s1, s3
	s_cmp_lg_u64 s[0:1], 0
	s_cbranch_scc0 .LBB3_39
; %bb.6:
	s_ashr_i32 s0, s3, 31
	v_add_co_u32 v9, s9, v2, 0
	s_add_u32 s12, s2, s0
	s_mov_b32 s1, s0
	s_addc_u32 s13, s3, s0
	v_add_co_ci_u32_e64 v10, null, 0, 0, s9
	s_xor_b64 s[12:13], s[12:13], s[0:1]
	v_cvt_f32_u32_e32 v3, s12
	v_cvt_f32_u32_e32 v4, s13
	s_sub_u32 s14, 0, s12
	s_subb_u32 s15, 0, s13
	v_fmamk_f32 v3, v4, 0x4f800000, v3
	v_rcp_f32_e32 v3, v3
	v_mul_f32_e32 v3, 0x5f7ffffc, v3
	v_mul_f32_e32 v4, 0x2f800000, v3
	v_trunc_f32_e32 v4, v4
	v_fmamk_f32 v3, v4, 0xcf800000, v3
	v_cvt_u32_f32_e32 v4, v4
	v_cvt_u32_f32_e32 v3, v3
	v_readfirstlane_b32 s0, v4
	v_readfirstlane_b32 s1, v3
	s_mul_i32 s16, s14, s0
	s_mul_hi_u32 s18, s14, s1
	s_mul_i32 s17, s15, s1
	s_add_i32 s16, s18, s16
	s_mul_i32 s19, s14, s1
	s_add_i32 s16, s16, s17
	s_mul_hi_u32 s18, s1, s19
	s_mul_i32 s21, s1, s16
	s_mul_hi_u32 s20, s0, s19
	s_mul_i32 s17, s0, s19
	s_mul_hi_u32 s19, s1, s16
	s_add_u32 s18, s18, s21
	s_addc_u32 s19, 0, s19
	s_mul_hi_u32 s22, s0, s16
	s_add_u32 s17, s18, s17
	s_mul_i32 s16, s0, s16
	s_addc_u32 s17, s19, s20
	s_addc_u32 s18, s22, 0
	s_add_u32 s16, s17, s16
	s_addc_u32 s17, 0, s18
	s_add_u32 s1, s1, s16
	s_cselect_b32 s16, -1, 0
	s_mul_hi_u32 s18, s14, s1
	s_cmp_lg_u32 s16, 0
	s_mul_i32 s16, s14, s1
	s_addc_u32 s0, s0, s17
	s_mul_i32 s15, s15, s1
	s_mul_i32 s14, s14, s0
	s_mul_hi_u32 s17, s1, s16
	s_add_i32 s14, s18, s14
	s_mul_hi_u32 s18, s0, s16
	s_add_i32 s14, s14, s15
	s_mul_i32 s15, s0, s16
	s_mul_i32 s20, s1, s14
	s_mul_hi_u32 s19, s1, s14
	s_add_u32 s17, s17, s20
	s_addc_u32 s19, 0, s19
	s_mul_hi_u32 s16, s0, s14
	s_add_u32 s15, s17, s15
	s_mul_i32 s14, s0, s14
	s_addc_u32 s15, s19, s18
	s_addc_u32 s16, s16, 0
	s_add_u32 s14, s15, s14
	s_addc_u32 s15, 0, s16
	s_add_u32 s1, s1, s14
	s_cselect_b32 s14, -1, 0
	v_mul_hi_u32 v11, v9, s1
	s_cmp_lg_u32 s14, 0
	v_mad_u64_u32 v[5:6], null, v10, s1, 0
	s_addc_u32 s0, s0, s15
	v_mad_u64_u32 v[3:4], null, v9, s0, 0
	v_mad_u64_u32 v[7:8], null, v10, s0, 0
	v_add_co_u32 v3, vcc_lo, v11, v3
	v_add_co_ci_u32_e64 v4, null, 0, v4, vcc_lo
	v_add_co_u32 v3, vcc_lo, v3, v5
	v_add_co_ci_u32_e32 v3, vcc_lo, v4, v6, vcc_lo
	v_add_co_ci_u32_e32 v4, vcc_lo, 0, v8, vcc_lo
	v_add_co_u32 v3, vcc_lo, v3, v7
	v_add_co_ci_u32_e64 v5, null, 0, v4, vcc_lo
	v_mul_lo_u32 v6, s13, v3
	v_mad_u64_u32 v[3:4], null, s12, v3, 0
	v_mul_lo_u32 v5, s12, v5
	v_sub_co_u32 v3, vcc_lo, v9, v3
	v_add3_u32 v4, v4, v5, v6
	v_cmp_le_u32_e64 s0, s12, v3
	v_sub_nc_u32_e32 v5, v10, v4
	v_sub_co_ci_u32_e64 v4, null, v10, v4, vcc_lo
	v_cndmask_b32_e64 v8, 0, -1, s0
	v_subrev_co_ci_u32_e64 v5, null, s13, v5, vcc_lo
	v_sub_co_u32 v6, vcc_lo, v3, s12
	v_subrev_co_ci_u32_e64 v7, null, 0, v5, vcc_lo
	v_cmp_le_u32_e64 s0, s12, v6
	v_subrev_co_ci_u32_e64 v5, null, s13, v5, vcc_lo
	v_cmp_le_u32_e32 vcc_lo, s13, v4
	v_cndmask_b32_e64 v9, 0, -1, s0
	v_cmp_le_u32_e64 s0, s13, v7
	v_cndmask_b32_e64 v11, 0, -1, vcc_lo
	v_cmp_eq_u32_e32 vcc_lo, s13, v7
	v_cndmask_b32_e64 v10, 0, -1, s0
	v_cmp_eq_u32_e64 s0, s13, v4
	v_cndmask_b32_e32 v9, v10, v9, vcc_lo
	v_sub_co_u32 v10, vcc_lo, v6, s12
	v_subrev_co_ci_u32_e64 v5, null, 0, v5, vcc_lo
	v_cmp_ne_u32_e32 vcc_lo, 0, v9
	v_cndmask_b32_e64 v8, v11, v8, s0
	v_cndmask_b32_e32 v5, v7, v5, vcc_lo
	v_cndmask_b32_e32 v6, v6, v10, vcc_lo
	v_cmp_ne_u32_e32 vcc_lo, 0, v8
	v_cndmask_b32_e32 v3, v3, v6, vcc_lo
	v_cndmask_b32_e32 v4, v4, v5, vcc_lo
	v_sub_co_u32 v8, vcc_lo, v3, 0
	v_subrev_co_ci_u32_e64 v9, null, 0, v4, vcc_lo
	v_cvt_f32_u32_e32 v4, s2
	s_cbranch_execnz .LBB3_8
.LBB3_7:
	v_rcp_iflag_f32_e32 v3, v4
	s_sub_i32 s0, 0, s2
	v_mov_b32_e32 v9, 0
	v_mul_f32_e32 v3, 0x4f7ffffe, v3
	v_cvt_u32_f32_e32 v3, v3
	v_mul_lo_u32 v5, s0, v3
	v_mul_hi_u32 v5, v3, v5
	v_add_nc_u32_e32 v3, v3, v5
	v_mul_hi_u32 v3, v2, v3
	v_mul_lo_u32 v3, v3, s2
	v_sub_nc_u32_e32 v3, v2, v3
	v_subrev_nc_u32_e32 v5, s2, v3
	v_cmp_le_u32_e32 vcc_lo, s2, v3
	v_cndmask_b32_e32 v3, v3, v5, vcc_lo
	v_subrev_nc_u32_e32 v5, s2, v3
	v_cmp_le_u32_e32 vcc_lo, s2, v3
	v_cndmask_b32_e32 v8, v3, v5, vcc_lo
.LBB3_8:
	s_load_dwordx2 s[12:13], s[4:5], 0x88
	v_mul_lo_u32 v3, v1, s6
	v_mul_lo_u32 v5, v0, s7
	v_mad_u64_u32 v[10:11], null, v0, s6, 0
	v_add3_u32 v11, v11, v5, v3
	v_sub_co_u32 v5, vcc_lo, v2, v10
	v_mov_b32_e32 v2, 0
	v_sub_co_ci_u32_e64 v6, null, 0, v11, vcc_lo
	s_waitcnt lgkmcnt(0)
	v_or_b32_e32 v3, s13, v6
	v_cmp_ne_u64_e32 vcc_lo, 0, v[2:3]
                                        ; implicit-def: $vgpr2_vgpr3
	s_and_saveexec_b32 s0, vcc_lo
	s_xor_b32 s1, exec_lo, s0
	s_cbranch_execz .LBB3_10
; %bb.9:
	s_ashr_i32 s6, s13, 31
	v_ashrrev_i32_e32 v7, 31, v6
	s_add_u32 s14, s12, s6
	s_mov_b32 s7, s6
	s_addc_u32 s15, s13, s6
	s_xor_b64 s[14:15], s[14:15], s[6:7]
	v_add_co_u32 v12, vcc_lo, v5, v7
	v_cvt_f32_u32_e32 v2, s14
	v_cvt_f32_u32_e32 v3, s15
	s_sub_u32 s9, 0, s14
	s_subb_u32 s16, 0, s15
	v_add_co_ci_u32_e64 v13, null, v6, v7, vcc_lo
	v_fmamk_f32 v2, v3, 0x4f800000, v2
	v_xor_b32_e32 v16, v12, v7
	v_xor_b32_e32 v17, v13, v7
	;; [unrolled: 1-line block ×3, first 2 shown]
	v_rcp_f32_e32 v2, v2
	v_mul_f32_e32 v2, 0x5f7ffffc, v2
	v_mul_f32_e32 v3, 0x2f800000, v2
	v_trunc_f32_e32 v3, v3
	v_fmamk_f32 v2, v3, 0xcf800000, v2
	v_cvt_u32_f32_e32 v3, v3
	v_cvt_u32_f32_e32 v2, v2
	v_readfirstlane_b32 s0, v3
	v_readfirstlane_b32 s7, v2
	s_mul_i32 s17, s9, s0
	s_mul_hi_u32 s19, s9, s7
	s_mul_i32 s18, s16, s7
	s_add_i32 s17, s19, s17
	s_mul_i32 s20, s9, s7
	s_add_i32 s17, s17, s18
	s_mul_hi_u32 s19, s7, s20
	s_mul_i32 s22, s7, s17
	s_mul_hi_u32 s21, s0, s20
	s_mul_i32 s18, s0, s20
	s_mul_hi_u32 s20, s7, s17
	s_add_u32 s19, s19, s22
	s_addc_u32 s20, 0, s20
	s_mul_hi_u32 s23, s0, s17
	s_add_u32 s18, s19, s18
	s_mul_i32 s17, s0, s17
	s_addc_u32 s18, s20, s21
	s_addc_u32 s19, s23, 0
	s_add_u32 s17, s18, s17
	s_addc_u32 s18, 0, s19
	s_add_u32 s7, s7, s17
	s_cselect_b32 s17, -1, 0
	s_mul_hi_u32 s19, s9, s7
	s_cmp_lg_u32 s17, 0
	s_mul_i32 s17, s9, s7
	s_addc_u32 s0, s0, s18
	s_mul_i32 s16, s16, s7
	s_mul_i32 s9, s9, s0
	s_mul_hi_u32 s18, s7, s17
	s_add_i32 s9, s19, s9
	s_mul_hi_u32 s19, s0, s17
	s_add_i32 s9, s9, s16
	s_mul_i32 s16, s0, s17
	s_mul_i32 s21, s7, s9
	s_mul_hi_u32 s20, s7, s9
	s_add_u32 s18, s18, s21
	s_addc_u32 s20, 0, s20
	s_mul_hi_u32 s17, s0, s9
	s_add_u32 s16, s18, s16
	s_mul_i32 s9, s0, s9
	s_addc_u32 s16, s20, s19
	s_addc_u32 s17, s17, 0
	s_add_u32 s9, s16, s9
	s_addc_u32 s16, 0, s17
	s_add_u32 s7, s7, s9
	s_cselect_b32 s9, -1, 0
	v_mul_hi_u32 v18, v16, s7
	s_cmp_lg_u32 s9, 0
	v_mad_u64_u32 v[12:13], null, v17, s7, 0
	s_addc_u32 s0, s0, s16
	v_mad_u64_u32 v[2:3], null, v16, s0, 0
	v_mad_u64_u32 v[14:15], null, v17, s0, 0
	v_add_co_u32 v2, vcc_lo, v18, v2
	v_add_co_ci_u32_e64 v3, null, 0, v3, vcc_lo
	v_add_co_u32 v2, vcc_lo, v2, v12
	v_add_co_ci_u32_e32 v2, vcc_lo, v3, v13, vcc_lo
	v_add_co_ci_u32_e32 v3, vcc_lo, 0, v15, vcc_lo
	v_add_co_u32 v12, vcc_lo, v2, v14
	v_add_co_ci_u32_e64 v13, null, 0, v3, vcc_lo
	v_mul_lo_u32 v14, s15, v12
	v_mad_u64_u32 v[2:3], null, s14, v12, 0
	v_mul_lo_u32 v15, s14, v13
	v_sub_co_u32 v2, vcc_lo, v16, v2
	v_add3_u32 v3, v3, v15, v14
	v_add_co_u32 v15, s0, v12, 2
	v_add_co_ci_u32_e64 v16, null, 0, v13, s0
	v_sub_nc_u32_e32 v14, v17, v3
	v_sub_co_u32 v18, s0, v2, s14
	v_sub_co_ci_u32_e64 v3, null, v17, v3, vcc_lo
	v_subrev_co_ci_u32_e64 v14, null, s15, v14, vcc_lo
	v_cmp_le_u32_e32 vcc_lo, s14, v18
	v_subrev_co_ci_u32_e64 v14, null, 0, v14, s0
	v_cndmask_b32_e64 v17, 0, -1, vcc_lo
	v_cmp_le_u32_e32 vcc_lo, s15, v14
	v_cndmask_b32_e64 v18, 0, -1, vcc_lo
	v_cmp_le_u32_e32 vcc_lo, s14, v2
	;; [unrolled: 2-line block ×3, first 2 shown]
	v_cndmask_b32_e64 v19, 0, -1, vcc_lo
	v_cmp_eq_u32_e32 vcc_lo, s15, v14
	v_cndmask_b32_e32 v14, v18, v17, vcc_lo
	v_add_co_u32 v17, vcc_lo, v12, 1
	v_add_co_ci_u32_e64 v18, null, 0, v13, vcc_lo
	v_cmp_eq_u32_e32 vcc_lo, s15, v3
	v_cndmask_b32_e32 v2, v19, v2, vcc_lo
	v_cmp_ne_u32_e32 vcc_lo, 0, v14
	v_cmp_ne_u32_e64 s0, 0, v2
	v_cndmask_b32_e32 v2, v17, v15, vcc_lo
	v_cndmask_b32_e32 v3, v18, v16, vcc_lo
	v_cndmask_b32_e64 v2, v12, v2, s0
	v_cndmask_b32_e64 v3, v13, v3, s0
	v_xor_b32_e32 v2, v2, v7
	v_xor_b32_e32 v3, v3, v7
	v_sub_co_u32 v2, vcc_lo, v2, v7
	v_sub_co_ci_u32_e64 v3, null, v3, v7, vcc_lo
.LBB3_10:
	s_andn2_saveexec_b32 s0, s1
	s_cbranch_execz .LBB3_12
; %bb.11:
	v_cvt_f32_u32_e32 v2, s12
	s_sub_i32 s1, 0, s12
	v_rcp_iflag_f32_e32 v2, v2
	v_mul_f32_e32 v2, 0x4f7ffffe, v2
	v_cvt_u32_f32_e32 v2, v2
	v_mul_lo_u32 v3, s1, v2
	v_mul_hi_u32 v3, v2, v3
	v_add_nc_u32_e32 v2, v2, v3
	v_mul_hi_u32 v2, v5, v2
	v_mul_lo_u32 v3, v2, s12
	v_add_nc_u32_e32 v7, 1, v2
	v_sub_nc_u32_e32 v3, v5, v3
	v_subrev_nc_u32_e32 v12, s12, v3
	v_cmp_le_u32_e32 vcc_lo, s12, v3
	v_cndmask_b32_e32 v3, v3, v12, vcc_lo
	v_cndmask_b32_e32 v2, v2, v7, vcc_lo
	v_cmp_le_u32_e32 vcc_lo, s12, v3
	v_add_nc_u32_e32 v7, 1, v2
	v_mov_b32_e32 v3, 0
	v_cndmask_b32_e32 v2, v2, v7, vcc_lo
.LBB3_12:
	s_or_b32 exec_lo, exec_lo, s0
	v_mul_lo_u32 v7, v3, s12
	v_mul_lo_u32 v14, v2, s13
	v_mad_u64_u32 v[12:13], null, v2, s12, 0
	v_add3_u32 v13, v13, v14, v7
	v_sub_co_u32 v5, vcc_lo, v5, v12
	v_sub_co_ci_u32_e64 v14, null, v6, v13, vcc_lo
	v_mov_b32_e32 v6, 0
	v_or_b32_e32 v7, s3, v14
	v_cmp_ne_u64_e32 vcc_lo, 0, v[6:7]
                                        ; implicit-def: $vgpr6_vgpr7
	s_and_saveexec_b32 s0, vcc_lo
	s_xor_b32 s1, exec_lo, s0
	s_cbranch_execz .LBB3_14
; %bb.13:
	s_ashr_i32 s6, s3, 31
	v_ashrrev_i32_e32 v16, 31, v14
	s_add_u32 s12, s2, s6
	s_mov_b32 s7, s6
	s_addc_u32 s13, s3, s6
	s_xor_b64 s[12:13], s[12:13], s[6:7]
	v_add_co_u32 v5, vcc_lo, v5, v16
	v_cvt_f32_u32_e32 v4, s12
	v_cvt_f32_u32_e32 v6, s13
	s_sub_u32 s9, 0, s12
	s_subb_u32 s14, 0, s13
	v_add_co_ci_u32_e64 v7, null, v14, v16, vcc_lo
	v_fmamk_f32 v4, v6, 0x4f800000, v4
	v_xor_b32_e32 v17, v5, v16
	v_xor_b32_e32 v18, v7, v16
	v_rcp_f32_e32 v4, v4
	v_mul_f32_e32 v4, 0x5f7ffffc, v4
	v_mul_f32_e32 v6, 0x2f800000, v4
	v_trunc_f32_e32 v6, v6
	v_fmamk_f32 v4, v6, 0xcf800000, v4
	v_cvt_u32_f32_e32 v6, v6
	v_cvt_u32_f32_e32 v4, v4
	v_readfirstlane_b32 s0, v6
	v_readfirstlane_b32 s7, v4
	s_mul_i32 s15, s9, s0
	s_mul_hi_u32 s17, s9, s7
	s_mul_i32 s16, s14, s7
	s_add_i32 s15, s17, s15
	s_mul_i32 s18, s9, s7
	s_add_i32 s15, s15, s16
	s_mul_hi_u32 s17, s7, s18
	s_mul_i32 s20, s7, s15
	s_mul_hi_u32 s19, s0, s18
	s_mul_i32 s16, s0, s18
	s_mul_hi_u32 s18, s7, s15
	s_add_u32 s17, s17, s20
	s_addc_u32 s18, 0, s18
	s_mul_hi_u32 s21, s0, s15
	s_add_u32 s16, s17, s16
	s_mul_i32 s15, s0, s15
	s_addc_u32 s16, s18, s19
	s_addc_u32 s17, s21, 0
	s_add_u32 s15, s16, s15
	s_addc_u32 s16, 0, s17
	s_add_u32 s7, s7, s15
	s_cselect_b32 s15, -1, 0
	s_mul_hi_u32 s17, s9, s7
	s_cmp_lg_u32 s15, 0
	s_mul_i32 s15, s9, s7
	s_addc_u32 s0, s0, s16
	s_mul_i32 s14, s14, s7
	s_mul_i32 s9, s9, s0
	s_mul_hi_u32 s16, s7, s15
	s_add_i32 s9, s17, s9
	s_mul_hi_u32 s17, s0, s15
	s_add_i32 s9, s9, s14
	s_mul_i32 s14, s0, s15
	s_mul_i32 s19, s7, s9
	s_mul_hi_u32 s18, s7, s9
	s_add_u32 s16, s16, s19
	s_addc_u32 s18, 0, s18
	s_mul_hi_u32 s15, s0, s9
	s_add_u32 s14, s16, s14
	s_mul_i32 s9, s0, s9
	s_addc_u32 s14, s18, s17
	s_addc_u32 s15, s15, 0
	s_add_u32 s9, s14, s9
	s_addc_u32 s14, 0, s15
	s_add_u32 s7, s7, s9
	s_cselect_b32 s9, -1, 0
	v_mul_hi_u32 v19, v17, s7
	s_cmp_lg_u32 s9, 0
	v_mad_u64_u32 v[6:7], null, v18, s7, 0
	s_addc_u32 s0, s0, s14
	v_mad_u64_u32 v[4:5], null, v17, s0, 0
	v_mad_u64_u32 v[14:15], null, v18, s0, 0
	v_add_co_u32 v4, vcc_lo, v19, v4
	v_add_co_ci_u32_e64 v5, null, 0, v5, vcc_lo
	v_add_co_u32 v4, vcc_lo, v4, v6
	v_add_co_ci_u32_e32 v4, vcc_lo, v5, v7, vcc_lo
	v_add_co_ci_u32_e32 v5, vcc_lo, 0, v15, vcc_lo
	v_add_co_u32 v6, vcc_lo, v4, v14
	v_add_co_ci_u32_e64 v7, null, 0, v5, vcc_lo
	v_mul_lo_u32 v14, s13, v6
	v_mad_u64_u32 v[4:5], null, s12, v6, 0
	v_mul_lo_u32 v15, s12, v7
	v_sub_co_u32 v4, vcc_lo, v17, v4
	v_add3_u32 v5, v5, v15, v14
	v_add_co_u32 v15, s0, v6, 2
	v_add_co_ci_u32_e64 v17, null, 0, v7, s0
	v_sub_nc_u32_e32 v14, v18, v5
	v_sub_co_u32 v19, s0, v4, s12
	v_sub_co_ci_u32_e64 v5, null, v18, v5, vcc_lo
	v_subrev_co_ci_u32_e64 v14, null, s13, v14, vcc_lo
	v_cmp_le_u32_e32 vcc_lo, s12, v19
	v_subrev_co_ci_u32_e64 v14, null, 0, v14, s0
	v_cndmask_b32_e64 v18, 0, -1, vcc_lo
	v_cmp_le_u32_e32 vcc_lo, s13, v14
	v_cndmask_b32_e64 v19, 0, -1, vcc_lo
	v_cmp_le_u32_e32 vcc_lo, s12, v4
	;; [unrolled: 2-line block ×3, first 2 shown]
	v_cndmask_b32_e64 v20, 0, -1, vcc_lo
	v_cmp_eq_u32_e32 vcc_lo, s13, v14
	v_cndmask_b32_e32 v14, v19, v18, vcc_lo
	v_add_co_u32 v18, vcc_lo, v6, 1
	v_add_co_ci_u32_e64 v19, null, 0, v7, vcc_lo
	v_cmp_eq_u32_e32 vcc_lo, s13, v5
	v_cndmask_b32_e32 v4, v20, v4, vcc_lo
	v_cmp_ne_u32_e32 vcc_lo, 0, v14
	v_xor_b32_e32 v14, s6, v16
	v_cmp_ne_u32_e64 s0, 0, v4
	v_cndmask_b32_e32 v4, v18, v15, vcc_lo
	v_cndmask_b32_e32 v5, v19, v17, vcc_lo
	v_cndmask_b32_e64 v4, v6, v4, s0
	v_cndmask_b32_e64 v5, v7, v5, s0
	v_xor_b32_e32 v4, v4, v14
	v_xor_b32_e32 v5, v5, v14
	v_sub_co_u32 v6, vcc_lo, v4, v14
	v_sub_co_ci_u32_e64 v7, null, v5, v14, vcc_lo
                                        ; implicit-def: $vgpr4
                                        ; implicit-def: $vgpr5
.LBB3_14:
	s_andn2_saveexec_b32 s0, s1
	s_cbranch_execz .LBB3_16
; %bb.15:
	v_rcp_iflag_f32_e32 v4, v4
	s_sub_i32 s1, 0, s2
	v_mul_f32_e32 v4, 0x4f7ffffe, v4
	v_cvt_u32_f32_e32 v4, v4
	v_mul_lo_u32 v6, s1, v4
	v_mul_hi_u32 v6, v4, v6
	v_add_nc_u32_e32 v4, v4, v6
	v_mul_hi_u32 v4, v5, v4
	v_mul_lo_u32 v6, v4, s2
	v_sub_nc_u32_e32 v5, v5, v6
	v_add_nc_u32_e32 v6, 1, v4
	v_subrev_nc_u32_e32 v7, s2, v5
	v_cmp_le_u32_e32 vcc_lo, s2, v5
	v_cndmask_b32_e32 v5, v5, v7, vcc_lo
	v_cndmask_b32_e32 v4, v4, v6, vcc_lo
	v_mov_b32_e32 v7, 0
	v_cmp_le_u32_e32 vcc_lo, s2, v5
	v_add_nc_u32_e32 v6, 1, v4
	v_cndmask_b32_e32 v6, v4, v6, vcc_lo
.LBB3_16:
	s_or_b32 exec_lo, exec_lo, s0
	s_clause 0x4
	s_load_dwordx8 s[36:43], s[4:5], 0xf8
	s_load_dwordx4 s[52:55], s[4:5], 0x0
	s_load_dwordx8 s[44:51], s[4:5], 0x18
	s_load_dwordx16 s[12:27], s[4:5], 0xb0
	s_load_dword s0, s[4:5], 0x118
	v_lshlrev_b64 v[12:13], 2, v[12:13]
	v_lshlrev_b64 v[10:11], 2, v[10:11]
	s_load_dwordx2 s[4:5], s[4:5], 0xf0
	s_mov_b32 s6, 0
	s_mov_b32 s9, s6
	s_waitcnt lgkmcnt(0)
	s_ashr_i32 s1, s42, 31
	v_mul_lo_u32 v18, v9, s42
	v_mad_u64_u32 v[4:5], null, v8, s42, 0
	v_mul_lo_u32 v20, v8, s1
	s_ashr_i32 s33, s36, 31
	s_mov_b32 s56, s36
	s_ashr_i32 s36, s43, 31
	v_mul_lo_u32 v19, v7, s43
	v_mad_u64_u32 v[14:15], null, v6, s43, 0
	v_mul_lo_u32 v21, v6, s36
	v_mul_lo_u32 v22, v3, s0
	v_add3_u32 v3, v5, v20, v18
	s_ashr_i32 s36, s0, 31
	s_ashr_i32 s7, s39, 31
	v_mad_u64_u32 v[16:17], null, v2, s0, 0
	v_mul_lo_u32 v23, v2, s36
	v_sub_co_u32 v2, vcc_lo, v4, s39
	v_add3_u32 v5, v15, v21, v19
	v_subrev_co_ci_u32_e64 v3, null, s7, v3, vcc_lo
	v_sub_co_u32 v4, vcc_lo, v14, s40
	v_mul_lo_u32 v18, v7, s2
	v_mul_lo_u32 v19, v6, s3
	v_mad_u64_u32 v[14:15], null, v6, s2, 0
	s_ashr_i32 s1, s40, 31
	v_add3_u32 v7, v17, v23, v22
	v_subrev_co_ci_u32_e64 v5, null, s1, v5, vcc_lo
	v_sub_co_u32 v6, vcc_lo, v16, s41
	v_add3_u32 v15, v15, v19, v18
	v_cvt_f32_u32_e32 v16, s20
	v_cvt_f32_u32_e32 v17, s28
	s_ashr_i32 s0, s41, 31
	v_lshlrev_b64 v[8:9], 2, v[8:9]
	v_subrev_co_ci_u32_e64 v7, null, s0, v7, vcc_lo
	v_add_co_u32 v18, vcc_lo, s54, v12
	v_add_co_ci_u32_e64 v19, null, s55, v13, vcc_lo
	v_lshlrev_b64 v[12:13], 2, v[14:15]
	v_rcp_iflag_f32_e32 v14, v16
	v_rcp_iflag_f32_e32 v15, v17
	v_add_co_u32 v10, vcc_lo, v18, v10
	v_add_co_ci_u32_e64 v11, null, v19, v11, vcc_lo
	v_cmp_gt_i64_e64 s39, s[18:19], s[8:9]
	v_add_co_u32 v10, vcc_lo, v10, v12
	v_add_co_ci_u32_e64 v11, null, v11, v13, vcc_lo
	v_mul_f32_e32 v12, 0x4f7ffffe, v14
	v_mul_f32_e32 v13, 0x4f7ffffe, v15
	v_add_co_u32 v14, vcc_lo, v10, v8
	v_add_co_ci_u32_e64 v15, null, v11, v9, vcc_lo
	v_cvt_u32_f32_e32 v16, v12
	v_cvt_u32_f32_e32 v17, v13
	s_ashr_i32 s57, s37, 31
	s_ashr_i32 s59, s38, 31
	s_sub_u32 s60, 0, s20
	s_mov_b32 s58, s37
	s_subb_u32 s61, 0, s21
	s_branch .LBB3_18
.LBB3_17:                               ;   in Loop: Header=BB3_18 Depth=1
	s_add_u32 s10, s10, 0xffff
	s_addc_u32 s11, s11, 0
	v_cmp_ge_i64_e64 s0, s[10:11], s[30:31]
	s_and_b32 vcc_lo, exec_lo, s0
	s_cbranch_vccnz .LBB3_37
.LBB3_18:                               ; =>This Loop Header: Depth=1
                                        ;     Child Loop BB3_22 Depth 2
	s_andn2_b32 vcc_lo, exec_lo, s39
	s_cbranch_vccnz .LBB3_17
; %bb.19:                               ;   in Loop: Header=BB3_18 Depth=1
	v_mad_u64_u32 v[8:9], null, s10, s56, v[2:3]
	s_mul_i32 s0, s11, s56
	s_mul_i32 s1, s10, s33
	;; [unrolled: 1-line block ×3, first 2 shown]
	s_mov_b64 s[36:37], s[8:9]
	v_add3_u32 v9, s1, s0, v9
	v_mul_lo_u32 v12, v8, s5
	v_mad_u64_u32 v[10:11], null, v8, s4, 0
	s_mul_i32 s0, s10, s35
	v_mul_lo_u32 v13, v9, s4
	s_mul_hi_u32 s1, s10, s34
	s_add_i32 s1, s1, s0
	s_mul_i32 s0, s10, s34
	s_add_i32 s1, s1, s2
	s_lshl_b64 s[2:3], s[0:1], 2
	v_add3_u32 v11, v11, v12, v13
	v_add_co_u32 v18, vcc_lo, v14, s2
	v_cmp_gt_i64_e64 s0, 0, v[8:9]
	v_cmp_gt_i64_e64 s1, s[50:51], v[8:9]
	v_lshlrev_b64 v[8:9], 2, v[10:11]
	v_add_co_ci_u32_e64 v19, null, s3, v15, vcc_lo
	s_branch .LBB3_22
.LBB3_20:                               ;   in Loop: Header=BB3_22 Depth=2
	s_or_b32 exec_lo, exec_lo, s2
.LBB3_21:                               ;   in Loop: Header=BB3_22 Depth=2
	s_or_b32 exec_lo, exec_lo, s3
	s_mul_i32 s2, s40, s13
	s_mul_hi_u32 s3, s40, s12
	s_mul_i32 s7, s41, s12
	s_add_i32 s2, s3, s2
	s_mul_hi_u32 s41, s42, s14
	s_add_i32 s3, s2, s7
	s_mul_i32 s2, s40, s12
	s_mul_i32 s7, s42, s15
	s_lshl_b64 s[2:3], s[2:3], 2
	s_add_i32 s7, s41, s7
	s_mul_i32 s40, s43, s14
	s_mul_i32 s43, s54, s17
	s_mul_hi_u32 s62, s54, s16
	v_add_co_u32 v10, vcc_lo, v18, s2
	s_add_i32 s41, s7, s40
	s_add_i32 s7, s62, s43
	s_mul_i32 s43, s55, s16
	s_mul_i32 s40, s42, s14
	v_add_co_ci_u32_e64 v11, null, s3, v19, vcc_lo
	s_add_i32 s43, s7, s43
	s_mul_i32 s42, s54, s16
	s_lshl_b64 s[2:3], s[40:41], 2
	s_lshl_b64 s[40:41], s[42:43], 2
	v_add_co_u32 v10, vcc_lo, v10, s2
	s_add_u32 s36, s36, 0xffff
	s_addc_u32 s37, s37, 0
	v_add_co_ci_u32_e64 v11, null, s3, v11, vcc_lo
	v_cmp_ge_i64_e64 s2, s[36:37], s[18:19]
	v_add_co_u32 v10, vcc_lo, v10, s40
	v_add_co_ci_u32_e64 v11, null, s41, v11, vcc_lo
	s_and_b32 vcc_lo, exec_lo, s2
	s_waitcnt vmcnt(0)
	global_store_dword v[10:11], v20, off
	s_cbranch_vccnz .LBB3_17
.LBB3_22:                               ;   Parent Loop BB3_18 Depth=1
                                        ; =>  This Inner Loop Header: Depth=2
	s_or_b64 s[2:3], s[36:37], s[20:21]
	s_mov_b32 s7, s3
	s_cmp_lg_u64 s[6:7], 0
	s_cbranch_scc0 .LBB3_34
; %bb.23:                               ;   in Loop: Header=BB3_22 Depth=2
	s_ashr_i32 s2, s21, 31
	s_add_u32 s40, s20, s2
	s_mov_b32 s3, s2
	s_addc_u32 s41, s21, s2
	s_xor_b64 s[40:41], s[40:41], s[2:3]
	v_cvt_f32_u32_e32 v10, s40
	v_cvt_f32_u32_e32 v11, s41
	s_sub_u32 s43, 0, s40
	s_subb_u32 s54, 0, s41
	v_fmac_f32_e32 v10, 0x4f800000, v11
	v_rcp_f32_e32 v10, v10
	v_mul_f32_e32 v10, 0x5f7ffffc, v10
	v_mul_f32_e32 v11, 0x2f800000, v10
	v_trunc_f32_e32 v11, v11
	v_fmac_f32_e32 v10, 0xcf800000, v11
	v_cvt_u32_f32_e32 v11, v11
	v_cvt_u32_f32_e32 v10, v10
	v_readfirstlane_b32 s7, v11
	v_readfirstlane_b32 s42, v10
	s_mul_i32 s55, s43, s7
	s_mul_hi_u32 s63, s43, s42
	s_mul_i32 s62, s54, s42
	s_add_i32 s55, s63, s55
	s_mul_i32 s64, s43, s42
	s_add_i32 s55, s55, s62
	s_mul_hi_u32 s63, s42, s64
	s_mul_i32 s66, s42, s55
	s_mul_hi_u32 s65, s7, s64
	s_mul_i32 s62, s7, s64
	s_mul_hi_u32 s64, s42, s55
	s_add_u32 s63, s63, s66
	s_addc_u32 s64, 0, s64
	s_mul_hi_u32 s67, s7, s55
	s_add_u32 s62, s63, s62
	s_mul_i32 s55, s7, s55
	s_addc_u32 s62, s64, s65
	s_addc_u32 s63, s67, 0
	s_add_u32 s55, s62, s55
	s_addc_u32 s62, 0, s63
	s_add_u32 s42, s42, s55
	s_cselect_b32 s55, -1, 0
	s_mul_hi_u32 s63, s43, s42
	s_cmp_lg_u32 s55, 0
	s_mul_i32 s55, s43, s42
	s_addc_u32 s7, s7, s62
	s_mul_i32 s54, s54, s42
	s_mul_i32 s43, s43, s7
	s_mul_hi_u32 s62, s42, s55
	s_add_i32 s43, s63, s43
	s_mul_hi_u32 s63, s7, s55
	s_add_i32 s43, s43, s54
	s_mul_i32 s54, s7, s55
	s_mul_i32 s65, s42, s43
	s_mul_hi_u32 s64, s42, s43
	s_add_u32 s62, s62, s65
	s_addc_u32 s64, 0, s64
	s_mul_hi_u32 s55, s7, s43
	s_add_u32 s54, s62, s54
	s_mul_i32 s43, s7, s43
	s_addc_u32 s54, s64, s63
	s_addc_u32 s55, s55, 0
	s_add_u32 s43, s54, s43
	s_addc_u32 s54, 0, s55
	s_add_u32 s62, s42, s43
	s_cselect_b32 s42, -1, 0
	s_cmp_lg_u32 s42, 0
	s_addc_u32 s7, s7, s54
	s_ashr_i32 s42, s37, 31
	s_add_u32 s54, s36, s42
	s_mov_b32 s43, s42
	s_addc_u32 s55, s37, s42
	s_xor_b64 s[54:55], s[54:55], s[42:43]
	s_mul_i32 s64, s54, s7
	s_mul_hi_u32 s65, s54, s62
	s_mul_hi_u32 s63, s54, s7
	;; [unrolled: 1-line block ×3, first 2 shown]
	s_mul_i32 s62, s55, s62
	s_add_u32 s64, s65, s64
	s_addc_u32 s63, 0, s63
	s_mul_hi_u32 s66, s55, s7
	s_add_u32 s62, s64, s62
	s_mul_i32 s7, s55, s7
	s_addc_u32 s62, s63, s67
	s_addc_u32 s63, s66, 0
	s_add_u32 s7, s62, s7
	s_addc_u32 s62, 0, s63
	s_mul_hi_u32 s63, s40, s7
	s_mul_i32 s64, s40, s62
	s_mul_i32 s65, s41, s7
	s_add_i32 s63, s63, s64
	s_mul_i32 s64, s40, s7
	s_add_i32 s63, s63, s65
	s_sub_i32 s65, s55, s63
	s_sub_u32 s54, s54, s64
	s_cselect_b32 s64, -1, 0
	s_cmp_lg_u32 s64, 0
	s_subb_u32 s65, s65, s41
	s_sub_u32 s66, s54, s40
	s_cselect_b32 s67, -1, 0
	s_cmp_lg_u32 s67, 0
	s_subb_u32 s65, s65, 0
	s_cmp_ge_u32 s65, s41
	s_cselect_b32 s67, -1, 0
	s_cmp_ge_u32 s66, s40
	s_cselect_b32 s66, -1, 0
	s_cmp_eq_u32 s65, s41
	s_cselect_b32 s65, s66, s67
	s_add_u32 s66, s7, 1
	s_addc_u32 s67, s62, 0
	s_add_u32 s68, s7, 2
	s_addc_u32 s69, s62, 0
	s_cmp_lg_u32 s65, 0
	s_cselect_b32 s65, s68, s66
	s_cselect_b32 s66, s69, s67
	s_cmp_lg_u32 s64, 0
	s_subb_u32 s55, s55, s63
	s_cmp_ge_u32 s55, s41
	s_cselect_b32 s63, -1, 0
	s_cmp_ge_u32 s54, s40
	s_cselect_b32 s40, -1, 0
	s_cmp_eq_u32 s55, s41
	s_cselect_b32 s40, s40, s63
	s_cmp_lg_u32 s40, 0
	s_cselect_b32 s41, s66, s62
	s_cselect_b32 s40, s65, s7
	s_xor_b64 s[2:3], s[42:43], s[2:3]
	s_xor_b64 s[40:41], s[40:41], s[2:3]
	s_sub_u32 s40, s40, s2
	s_subb_u32 s41, s41, s3
	s_cbranch_execnz .LBB3_25
.LBB3_24:                               ;   in Loop: Header=BB3_22 Depth=2
	v_readfirstlane_b32 s2, v16
	s_sub_i32 s3, 0, s20
	s_mov_b32 s41, s6
	s_mul_i32 s3, s3, s2
	s_mul_hi_u32 s3, s2, s3
	s_add_i32 s2, s2, s3
	s_mul_hi_u32 s2, s36, s2
	s_mul_i32 s3, s2, s20
	s_add_i32 s7, s2, 1
	s_sub_i32 s3, s36, s3
	s_sub_i32 s40, s3, s20
	s_cmp_ge_u32 s3, s20
	s_cselect_b32 s2, s7, s2
	s_cselect_b32 s3, s40, s3
	s_add_i32 s7, s2, 1
	s_cmp_ge_u32 s3, s20
	s_cselect_b32 s40, s7, s2
.LBB3_25:                               ;   in Loop: Header=BB3_22 Depth=2
	s_mul_i32 s2, s60, s41
	s_mul_hi_u32 s3, s60, s40
	s_mul_i32 s7, s60, s40
	s_add_i32 s2, s3, s2
	s_mul_i32 s3, s61, s40
	s_add_i32 s3, s2, s3
	s_add_u32 s2, s36, s7
	s_addc_u32 s3, s37, s3
	s_or_b64 s[42:43], s[2:3], s[28:29]
	s_mov_b32 s7, s43
	s_cmp_lg_u64 s[6:7], 0
	s_cbranch_scc0 .LBB3_35
; %bb.26:                               ;   in Loop: Header=BB3_22 Depth=2
	s_ashr_i32 s42, s29, 31
	s_add_u32 s54, s28, s42
	s_mov_b32 s43, s42
	s_addc_u32 s55, s29, s42
	s_xor_b64 s[54:55], s[54:55], s[42:43]
	v_cvt_f32_u32_e32 v10, s54
	v_cvt_f32_u32_e32 v11, s55
	s_sub_u32 s63, 0, s54
	s_subb_u32 s64, 0, s55
	v_fmac_f32_e32 v10, 0x4f800000, v11
	v_rcp_f32_e32 v10, v10
	v_mul_f32_e32 v10, 0x5f7ffffc, v10
	v_mul_f32_e32 v11, 0x2f800000, v10
	v_trunc_f32_e32 v11, v11
	v_fmac_f32_e32 v10, 0xcf800000, v11
	v_cvt_u32_f32_e32 v11, v11
	v_cvt_u32_f32_e32 v10, v10
	v_readfirstlane_b32 s7, v11
	v_readfirstlane_b32 s62, v10
	s_mul_i32 s65, s63, s7
	s_mul_hi_u32 s67, s63, s62
	s_mul_i32 s66, s64, s62
	s_add_i32 s65, s67, s65
	s_mul_i32 s68, s63, s62
	s_add_i32 s65, s65, s66
	s_mul_hi_u32 s67, s62, s68
	s_mul_i32 s70, s62, s65
	s_mul_hi_u32 s69, s7, s68
	s_mul_i32 s66, s7, s68
	s_mul_hi_u32 s68, s62, s65
	s_add_u32 s67, s67, s70
	s_addc_u32 s68, 0, s68
	s_mul_hi_u32 s71, s7, s65
	s_add_u32 s66, s67, s66
	s_mul_i32 s65, s7, s65
	s_addc_u32 s66, s68, s69
	s_addc_u32 s67, s71, 0
	s_add_u32 s65, s66, s65
	s_addc_u32 s66, 0, s67
	s_add_u32 s62, s62, s65
	s_cselect_b32 s65, -1, 0
	s_mul_hi_u32 s67, s63, s62
	s_cmp_lg_u32 s65, 0
	s_mul_i32 s65, s63, s62
	s_addc_u32 s7, s7, s66
	s_mul_i32 s64, s64, s62
	s_mul_i32 s63, s63, s7
	s_mul_hi_u32 s66, s62, s65
	s_add_i32 s63, s67, s63
	s_mul_hi_u32 s67, s7, s65
	s_add_i32 s63, s63, s64
	s_mul_i32 s64, s7, s65
	s_mul_i32 s69, s62, s63
	s_mul_hi_u32 s68, s62, s63
	s_add_u32 s66, s66, s69
	s_addc_u32 s68, 0, s68
	s_mul_hi_u32 s65, s7, s63
	s_add_u32 s64, s66, s64
	s_mul_i32 s63, s7, s63
	s_addc_u32 s64, s68, s67
	s_addc_u32 s65, s65, 0
	s_add_u32 s63, s64, s63
	s_addc_u32 s64, 0, s65
	s_add_u32 s66, s62, s63
	s_cselect_b32 s62, -1, 0
	s_cmp_lg_u32 s62, 0
	s_addc_u32 s7, s7, s64
	s_ashr_i32 s62, s3, 31
	s_add_u32 s64, s2, s62
	s_mov_b32 s63, s62
	s_addc_u32 s65, s3, s62
	s_xor_b64 s[64:65], s[64:65], s[62:63]
	s_mul_i32 s67, s64, s7
	s_mul_hi_u32 s68, s64, s66
	s_mul_hi_u32 s3, s64, s7
	s_mul_hi_u32 s70, s65, s66
	s_mul_i32 s66, s65, s66
	s_add_u32 s67, s68, s67
	s_addc_u32 s3, 0, s3
	s_mul_hi_u32 s69, s65, s7
	s_add_u32 s66, s67, s66
	s_mul_i32 s7, s65, s7
	s_addc_u32 s3, s3, s70
	s_addc_u32 s66, s69, 0
	s_add_u32 s3, s3, s7
	s_addc_u32 s7, 0, s66
	s_mul_hi_u32 s66, s54, s3
	s_mul_i32 s67, s54, s7
	s_mul_i32 s68, s55, s3
	s_add_i32 s66, s66, s67
	s_mul_i32 s67, s54, s3
	s_add_i32 s66, s66, s68
	s_sub_i32 s68, s65, s66
	s_sub_u32 s64, s64, s67
	s_cselect_b32 s67, -1, 0
	s_cmp_lg_u32 s67, 0
	s_subb_u32 s68, s68, s55
	s_sub_u32 s69, s64, s54
	s_cselect_b32 s70, -1, 0
	s_cmp_lg_u32 s70, 0
	s_subb_u32 s68, s68, 0
	s_cmp_ge_u32 s68, s55
	s_cselect_b32 s70, -1, 0
	s_cmp_ge_u32 s69, s54
	s_cselect_b32 s69, -1, 0
	s_cmp_eq_u32 s68, s55
	s_cselect_b32 s68, s69, s70
	s_add_u32 s69, s3, 1
	s_addc_u32 s70, s7, 0
	s_add_u32 s71, s3, 2
	s_addc_u32 s72, s7, 0
	s_cmp_lg_u32 s68, 0
	s_cselect_b32 s68, s71, s69
	s_cselect_b32 s69, s72, s70
	s_cmp_lg_u32 s67, 0
	s_subb_u32 s65, s65, s66
	s_cmp_ge_u32 s65, s55
	s_cselect_b32 s66, -1, 0
	s_cmp_ge_u32 s64, s54
	s_cselect_b32 s54, -1, 0
	s_cmp_eq_u32 s65, s55
	s_cselect_b32 s54, s54, s66
	s_cmp_lg_u32 s54, 0
	s_cselect_b32 s55, s69, s7
	s_cselect_b32 s54, s68, s3
	s_xor_b64 s[42:43], s[62:63], s[42:43]
	s_xor_b64 s[54:55], s[54:55], s[42:43]
	s_sub_u32 s42, s54, s42
	s_subb_u32 s43, s55, s43
	s_cbranch_execnz .LBB3_28
.LBB3_27:                               ;   in Loop: Header=BB3_22 Depth=2
	v_readfirstlane_b32 s3, v17
	s_sub_i32 s7, 0, s28
	s_mov_b32 s43, s6
	s_mul_i32 s7, s7, s3
	s_mul_hi_u32 s7, s3, s7
	s_add_i32 s3, s3, s7
	s_mul_hi_u32 s3, s2, s3
	s_mul_i32 s7, s3, s28
	s_sub_i32 s2, s2, s7
	s_add_i32 s7, s3, 1
	s_sub_i32 s42, s2, s28
	s_cmp_ge_u32 s2, s28
	s_cselect_b32 s3, s7, s3
	s_cselect_b32 s2, s42, s2
	s_add_i32 s7, s3, 1
	s_cmp_ge_u32 s2, s28
	s_cselect_b32 s42, s7, s3
.LBB3_28:                               ;   in Loop: Header=BB3_22 Depth=2
	s_or_b64 s[2:3], s[36:37], s[28:29]
	s_mov_b32 s7, s3
	s_cmp_lg_u64 s[6:7], 0
	s_cbranch_scc0 .LBB3_36
; %bb.29:                               ;   in Loop: Header=BB3_22 Depth=2
	s_ashr_i32 s2, s29, 31
	s_add_u32 s54, s28, s2
	s_mov_b32 s3, s2
	s_addc_u32 s55, s29, s2
	s_xor_b64 s[2:3], s[54:55], s[2:3]
	v_cvt_f32_u32_e32 v10, s2
	v_cvt_f32_u32_e32 v11, s3
	s_sub_u32 s55, 0, s2
	s_subb_u32 s62, 0, s3
	v_fmac_f32_e32 v10, 0x4f800000, v11
	v_rcp_f32_e32 v10, v10
	v_mul_f32_e32 v10, 0x5f7ffffc, v10
	v_mul_f32_e32 v11, 0x2f800000, v10
	v_trunc_f32_e32 v11, v11
	v_fmac_f32_e32 v10, 0xcf800000, v11
	v_cvt_u32_f32_e32 v11, v11
	v_cvt_u32_f32_e32 v10, v10
	v_readfirstlane_b32 s7, v11
	v_readfirstlane_b32 s54, v10
	s_mul_i32 s63, s55, s7
	s_mul_hi_u32 s65, s55, s54
	s_mul_i32 s64, s62, s54
	s_add_i32 s63, s65, s63
	s_mul_i32 s66, s55, s54
	s_add_i32 s63, s63, s64
	s_mul_hi_u32 s65, s54, s66
	s_mul_i32 s68, s54, s63
	s_mul_hi_u32 s67, s7, s66
	s_mul_i32 s64, s7, s66
	s_mul_hi_u32 s66, s54, s63
	s_add_u32 s65, s65, s68
	s_addc_u32 s66, 0, s66
	s_mul_hi_u32 s69, s7, s63
	s_add_u32 s64, s65, s64
	s_mul_i32 s63, s7, s63
	s_addc_u32 s64, s66, s67
	s_addc_u32 s65, s69, 0
	s_add_u32 s63, s64, s63
	s_addc_u32 s64, 0, s65
	s_add_u32 s54, s54, s63
	s_cselect_b32 s63, -1, 0
	s_mul_hi_u32 s65, s55, s54
	s_cmp_lg_u32 s63, 0
	s_mul_i32 s63, s55, s54
	s_addc_u32 s7, s7, s64
	s_mul_i32 s62, s62, s54
	s_mul_i32 s55, s55, s7
	s_mul_hi_u32 s64, s54, s63
	s_add_i32 s55, s65, s55
	s_mul_hi_u32 s65, s7, s63
	s_add_i32 s55, s55, s62
	s_mul_i32 s62, s7, s63
	s_mul_i32 s67, s54, s55
	s_mul_hi_u32 s66, s54, s55
	s_add_u32 s64, s64, s67
	s_addc_u32 s66, 0, s66
	s_mul_hi_u32 s63, s7, s55
	s_add_u32 s62, s64, s62
	s_mul_i32 s55, s7, s55
	s_addc_u32 s62, s66, s65
	s_addc_u32 s63, s63, 0
	s_add_u32 s55, s62, s55
	s_addc_u32 s62, 0, s63
	s_add_u32 s64, s54, s55
	s_cselect_b32 s54, -1, 0
	s_cmp_lg_u32 s54, 0
	s_addc_u32 s7, s7, s62
	s_ashr_i32 s62, s37, 31
	s_add_u32 s54, s36, s62
	s_mov_b32 s63, s62
	s_addc_u32 s55, s37, s62
	s_xor_b64 s[54:55], s[54:55], s[62:63]
	s_mul_i32 s66, s54, s7
	s_mul_hi_u32 s67, s54, s64
	s_mul_hi_u32 s65, s54, s7
	;; [unrolled: 1-line block ×3, first 2 shown]
	s_mul_i32 s64, s55, s64
	s_add_u32 s66, s67, s66
	s_addc_u32 s65, 0, s65
	s_mul_hi_u32 s68, s55, s7
	s_add_u32 s64, s66, s64
	s_mul_i32 s7, s55, s7
	s_addc_u32 s64, s65, s69
	s_addc_u32 s65, s68, 0
	s_add_u32 s7, s64, s7
	s_addc_u32 s64, 0, s65
	s_mul_hi_u32 s65, s2, s7
	s_mul_i32 s64, s2, s64
	s_mul_i32 s66, s3, s7
	s_add_i32 s64, s65, s64
	s_mul_i32 s7, s2, s7
	s_add_i32 s64, s64, s66
	s_sub_i32 s65, s55, s64
	s_sub_u32 s7, s54, s7
	s_cselect_b32 s54, -1, 0
	s_cmp_lg_u32 s54, 0
	s_subb_u32 s65, s65, s3
	s_sub_u32 s66, s7, s2
	s_cselect_b32 s67, -1, 0
	s_cmp_lg_u32 s67, 0
	s_subb_u32 s68, s65, 0
	s_cmp_ge_u32 s68, s3
	s_cselect_b32 s69, -1, 0
	s_cmp_ge_u32 s66, s2
	s_cselect_b32 s70, -1, 0
	s_cmp_eq_u32 s68, s3
	s_cselect_b32 s69, s70, s69
	s_cmp_lg_u32 s67, 0
	s_subb_u32 s65, s65, s3
	s_sub_u32 s67, s66, s2
	s_cselect_b32 s70, -1, 0
	s_cmp_lg_u32 s70, 0
	s_subb_u32 s65, s65, 0
	s_cmp_lg_u32 s69, 0
	s_cselect_b32 s66, s67, s66
	s_cselect_b32 s65, s65, s68
	s_cmp_lg_u32 s54, 0
	s_subb_u32 s54, s55, s64
	s_cmp_ge_u32 s54, s3
	s_cselect_b32 s55, -1, 0
	s_cmp_ge_u32 s7, s2
	s_cselect_b32 s2, -1, 0
	s_cmp_eq_u32 s54, s3
	s_cselect_b32 s2, s2, s55
	s_cmp_lg_u32 s2, 0
	s_cselect_b32 s3, s65, s54
	s_cselect_b32 s2, s66, s7
	s_xor_b64 s[2:3], s[2:3], s[62:63]
	s_sub_u32 s54, s2, s62
	s_subb_u32 s55, s3, s62
	s_cbranch_execnz .LBB3_31
.LBB3_30:                               ;   in Loop: Header=BB3_22 Depth=2
	v_readfirstlane_b32 s2, v17
	s_sub_i32 s3, 0, s28
	s_mov_b32 s55, s6
	s_mul_i32 s3, s3, s2
	s_mul_hi_u32 s3, s2, s3
	s_add_i32 s2, s2, s3
	s_mul_hi_u32 s2, s36, s2
	s_mul_i32 s2, s2, s28
	s_sub_i32 s2, s36, s2
	s_sub_i32 s3, s2, s28
	s_cmp_ge_u32 s2, s28
	s_cselect_b32 s2, s3, s2
	s_sub_i32 s3, s2, s28
	s_cmp_ge_u32 s2, s28
	s_cselect_b32 s54, s3, s2
.LBB3_31:                               ;   in Loop: Header=BB3_22 Depth=2
	v_mad_u64_u32 v[10:11], null, s54, s58, v[4:5]
	s_mul_i32 s2, s55, s58
	s_mul_i32 s3, s54, s57
	v_mov_b32_e32 v20, 0
	v_add3_u32 v11, s3, s2, v11
	v_cmp_gt_i64_e32 vcc_lo, 0, v[10:11]
	v_cmp_le_i64_e64 s2, s[48:49], v[10:11]
	s_or_b32 s2, vcc_lo, s2
	s_nor_b32 s2, s2, s0
	s_and_saveexec_b32 s3, s2
	s_cbranch_execz .LBB3_21
; %bb.32:                               ;   in Loop: Header=BB3_22 Depth=2
	v_mad_u64_u32 v[12:13], null, s42, s38, v[6:7]
	s_mul_i32 s2, s43, s38
	s_mul_i32 s7, s42, s59
	v_mov_b32_e32 v20, 0
	v_add3_u32 v13, s7, s2, v13
	v_cmp_lt_i64_e32 vcc_lo, -1, v[12:13]
	v_cmp_gt_i64_e64 s2, s[46:47], v[12:13]
	s_and_b32 s2, vcc_lo, s2
	s_and_b32 s7, s1, s2
	s_and_saveexec_b32 s2, s7
	s_cbranch_execz .LBB3_20
; %bb.33:                               ;   in Loop: Header=BB3_22 Depth=2
	v_mad_u64_u32 v[20:21], null, s40, s44, v[0:1]
	s_mul_i32 s7, s41, s44
	s_mul_i32 s62, s40, s45
	v_mul_lo_u32 v24, v13, s24
	v_mul_lo_u32 v25, v12, s25
	v_mad_u64_u32 v[12:13], null, v12, s24, 0
	v_add3_u32 v22, s62, s7, v21
	v_mul_lo_u32 v23, v20, s23
	v_mad_u64_u32 v[20:21], null, v20, s22, 0
	v_mul_lo_u32 v26, v11, s26
	v_mul_lo_u32 v22, v22, s22
	;; [unrolled: 1-line block ×3, first 2 shown]
	v_mad_u64_u32 v[10:11], null, v10, s26, 0
	v_add3_u32 v13, v13, v25, v24
	v_add3_u32 v21, v21, v23, v22
	v_lshlrev_b64 v[12:13], 2, v[12:13]
	v_add3_u32 v11, v11, v27, v26
	v_lshlrev_b64 v[20:21], 2, v[20:21]
	v_lshlrev_b64 v[10:11], 2, v[10:11]
	v_add_co_u32 v20, vcc_lo, s52, v20
	v_add_co_ci_u32_e64 v21, null, s53, v21, vcc_lo
	v_add_co_u32 v12, vcc_lo, v20, v12
	v_add_co_ci_u32_e64 v13, null, v21, v13, vcc_lo
	;; [unrolled: 2-line block ×4, first 2 shown]
	global_load_dword v20, v[10:11], off
	s_branch .LBB3_20
.LBB3_34:                               ;   in Loop: Header=BB3_22 Depth=2
                                        ; implicit-def: $sgpr40_sgpr41
	s_branch .LBB3_24
.LBB3_35:                               ;   in Loop: Header=BB3_22 Depth=2
                                        ; implicit-def: $sgpr42_sgpr43
	s_branch .LBB3_27
.LBB3_36:                               ;   in Loop: Header=BB3_22 Depth=2
                                        ; implicit-def: $sgpr54_sgpr55
	s_branch .LBB3_30
.LBB3_37:
	s_endpgm
.LBB3_38:
                                        ; implicit-def: $vgpr0_vgpr1
	s_branch .LBB3_3
.LBB3_39:
                                        ; implicit-def: $vgpr8_vgpr9
	v_cvt_f32_u32_e32 v4, s2
	s_branch .LBB3_7
	.section	.rodata,"a",@progbits
	.p2align	6, 0x0
	.amdhsa_kernel _ZL16im2col_3d_kernelIfEvPKfPT_llllllllllllllllllllllllllllliiiiiiiii
		.amdhsa_group_segment_fixed_size 0
		.amdhsa_private_segment_fixed_size 0
		.amdhsa_kernarg_size 544
		.amdhsa_user_sgpr_count 6
		.amdhsa_user_sgpr_private_segment_buffer 1
		.amdhsa_user_sgpr_dispatch_ptr 0
		.amdhsa_user_sgpr_queue_ptr 0
		.amdhsa_user_sgpr_kernarg_segment_ptr 1
		.amdhsa_user_sgpr_dispatch_id 0
		.amdhsa_user_sgpr_flat_scratch_init 0
		.amdhsa_user_sgpr_private_segment_size 0
		.amdhsa_wavefront_size32 1
		.amdhsa_uses_dynamic_stack 0
		.amdhsa_system_sgpr_private_segment_wavefront_offset 0
		.amdhsa_system_sgpr_workgroup_id_x 1
		.amdhsa_system_sgpr_workgroup_id_y 1
		.amdhsa_system_sgpr_workgroup_id_z 1
		.amdhsa_system_sgpr_workgroup_info 0
		.amdhsa_system_vgpr_workitem_id 0
		.amdhsa_next_free_vgpr 28
		.amdhsa_next_free_sgpr 73
		.amdhsa_reserve_vcc 1
		.amdhsa_reserve_flat_scratch 0
		.amdhsa_float_round_mode_32 0
		.amdhsa_float_round_mode_16_64 0
		.amdhsa_float_denorm_mode_32 3
		.amdhsa_float_denorm_mode_16_64 3
		.amdhsa_dx10_clamp 1
		.amdhsa_ieee_mode 1
		.amdhsa_fp16_overflow 0
		.amdhsa_workgroup_processor_mode 1
		.amdhsa_memory_ordered 1
		.amdhsa_forward_progress 1
		.amdhsa_shared_vgpr_count 0
		.amdhsa_exception_fp_ieee_invalid_op 0
		.amdhsa_exception_fp_denorm_src 0
		.amdhsa_exception_fp_ieee_div_zero 0
		.amdhsa_exception_fp_ieee_overflow 0
		.amdhsa_exception_fp_ieee_underflow 0
		.amdhsa_exception_fp_ieee_inexact 0
		.amdhsa_exception_int_div_zero 0
	.end_amdhsa_kernel
	.section	.text._ZL16im2col_3d_kernelIfEvPKfPT_llllllllllllllllllllllllllllliiiiiiiii,"axG",@progbits,_ZL16im2col_3d_kernelIfEvPKfPT_llllllllllllllllllllllllllllliiiiiiiii,comdat
.Lfunc_end3:
	.size	_ZL16im2col_3d_kernelIfEvPKfPT_llllllllllllllllllllllllllllliiiiiiiii, .Lfunc_end3-_ZL16im2col_3d_kernelIfEvPKfPT_llllllllllllllllllllllllllllliiiiiiiii
                                        ; -- End function
	.set _ZL16im2col_3d_kernelIfEvPKfPT_llllllllllllllllllllllllllllliiiiiiiii.num_vgpr, 28
	.set _ZL16im2col_3d_kernelIfEvPKfPT_llllllllllllllllllllllllllllliiiiiiiii.num_agpr, 0
	.set _ZL16im2col_3d_kernelIfEvPKfPT_llllllllllllllllllllllllllllliiiiiiiii.numbered_sgpr, 73
	.set _ZL16im2col_3d_kernelIfEvPKfPT_llllllllllllllllllllllllllllliiiiiiiii.num_named_barrier, 0
	.set _ZL16im2col_3d_kernelIfEvPKfPT_llllllllllllllllllllllllllllliiiiiiiii.private_seg_size, 0
	.set _ZL16im2col_3d_kernelIfEvPKfPT_llllllllllllllllllllllllllllliiiiiiiii.uses_vcc, 1
	.set _ZL16im2col_3d_kernelIfEvPKfPT_llllllllllllllllllllllllllllliiiiiiiii.uses_flat_scratch, 0
	.set _ZL16im2col_3d_kernelIfEvPKfPT_llllllllllllllllllllllllllllliiiiiiiii.has_dyn_sized_stack, 0
	.set _ZL16im2col_3d_kernelIfEvPKfPT_llllllllllllllllllllllllllllliiiiiiiii.has_recursion, 0
	.set _ZL16im2col_3d_kernelIfEvPKfPT_llllllllllllllllllllllllllllliiiiiiiii.has_indirect_call, 0
	.section	.AMDGPU.csdata,"",@progbits
; Kernel info:
; codeLenInByte = 6236
; TotalNumSgprs: 75
; NumVgprs: 28
; ScratchSize: 0
; MemoryBound: 0
; FloatMode: 240
; IeeeMode: 1
; LDSByteSize: 0 bytes/workgroup (compile time only)
; SGPRBlocks: 0
; VGPRBlocks: 3
; NumSGPRsForWavesPerEU: 75
; NumVGPRsForWavesPerEU: 28
; Occupancy: 16
; WaveLimiterHint : 1
; COMPUTE_PGM_RSRC2:SCRATCH_EN: 0
; COMPUTE_PGM_RSRC2:USER_SGPR: 6
; COMPUTE_PGM_RSRC2:TRAP_HANDLER: 0
; COMPUTE_PGM_RSRC2:TGID_X_EN: 1
; COMPUTE_PGM_RSRC2:TGID_Y_EN: 1
; COMPUTE_PGM_RSRC2:TGID_Z_EN: 1
; COMPUTE_PGM_RSRC2:TIDIG_COMP_CNT: 0
	.section	.AMDGPU.gpr_maximums,"",@progbits
	.set amdgpu.max_num_vgpr, 0
	.set amdgpu.max_num_agpr, 0
	.set amdgpu.max_num_sgpr, 0
	.section	.AMDGPU.csdata,"",@progbits
	.type	__hip_cuid_e6f6a12238612e5a,@object ; @__hip_cuid_e6f6a12238612e5a
	.section	.bss,"aw",@nobits
	.globl	__hip_cuid_e6f6a12238612e5a
__hip_cuid_e6f6a12238612e5a:
	.byte	0                               ; 0x0
	.size	__hip_cuid_e6f6a12238612e5a, 1

	.ident	"AMD clang version 22.0.0git (https://github.com/RadeonOpenCompute/llvm-project roc-7.2.4 26084 f58b06dce1f9c15707c5f808fd002e18c2accf7e)"
	.section	".note.GNU-stack","",@progbits
	.addrsig
	.addrsig_sym __hip_cuid_e6f6a12238612e5a
	.amdgpu_metadata
---
amdhsa.kernels:
  - .args:
      - .address_space:  global
        .offset:         0
        .size:           8
        .value_kind:     global_buffer
      - .address_space:  global
        .offset:         8
        .size:           8
        .value_kind:     global_buffer
      - .offset:         16
        .size:           8
        .value_kind:     by_value
      - .offset:         24
        .size:           8
        .value_kind:     by_value
      - .offset:         32
        .size:           8
        .value_kind:     by_value
      - .offset:         40
        .size:           8
        .value_kind:     by_value
      - .offset:         48
        .size:           8
        .value_kind:     by_value
      - .offset:         56
        .size:           8
        .value_kind:     by_value
      - .offset:         64
        .size:           8
        .value_kind:     by_value
      - .offset:         72
        .size:           8
        .value_kind:     by_value
      - .offset:         80
        .size:           8
        .value_kind:     by_value
      - .offset:         88
        .size:           8
        .value_kind:     by_value
      - .offset:         96
        .size:           8
        .value_kind:     by_value
      - .offset:         104
        .size:           8
        .value_kind:     by_value
      - .offset:         112
        .size:           4
        .value_kind:     by_value
      - .offset:         116
        .size:           4
        .value_kind:     by_value
      - .offset:         120
        .size:           4
        .value_kind:     by_value
      - .offset:         124
        .size:           4
        .value_kind:     by_value
      - .offset:         128
        .size:           4
        .value_kind:     by_value
      - .offset:         132
        .size:           4
        .value_kind:     by_value
      - .offset:         136
        .size:           4
        .value_kind:     hidden_block_count_x
      - .offset:         140
        .size:           4
        .value_kind:     hidden_block_count_y
      - .offset:         144
        .size:           4
        .value_kind:     hidden_block_count_z
      - .offset:         148
        .size:           2
        .value_kind:     hidden_group_size_x
      - .offset:         150
        .size:           2
        .value_kind:     hidden_group_size_y
      - .offset:         152
        .size:           2
        .value_kind:     hidden_group_size_z
      - .offset:         154
        .size:           2
        .value_kind:     hidden_remainder_x
      - .offset:         156
        .size:           2
        .value_kind:     hidden_remainder_y
      - .offset:         158
        .size:           2
        .value_kind:     hidden_remainder_z
      - .offset:         176
        .size:           8
        .value_kind:     hidden_global_offset_x
      - .offset:         184
        .size:           8
        .value_kind:     hidden_global_offset_y
      - .offset:         192
        .size:           8
        .value_kind:     hidden_global_offset_z
      - .offset:         200
        .size:           2
        .value_kind:     hidden_grid_dims
    .group_segment_fixed_size: 0
    .kernarg_segment_align: 8
    .kernarg_segment_size: 392
    .language:       OpenCL C
    .language_version:
      - 2
      - 0
    .max_flat_workgroup_size: 1024
    .name:           _ZL13im2col_kernelI6__halfEvPKfPT_lllllllllllliiiiii
    .private_segment_fixed_size: 0
    .sgpr_count:     51
    .sgpr_spill_count: 0
    .symbol:         _ZL13im2col_kernelI6__halfEvPKfPT_lllllllllllliiiiii.kd
    .uniform_work_group_size: 1
    .uses_dynamic_stack: false
    .vgpr_count:     17
    .vgpr_spill_count: 0
    .wavefront_size: 32
    .workgroup_processor_mode: 1
  - .args:
      - .address_space:  global
        .offset:         0
        .size:           8
        .value_kind:     global_buffer
      - .address_space:  global
        .offset:         8
        .size:           8
        .value_kind:     global_buffer
      - .offset:         16
        .size:           8
        .value_kind:     by_value
      - .offset:         24
        .size:           8
        .value_kind:     by_value
      - .offset:         32
        .size:           8
        .value_kind:     by_value
      - .offset:         40
        .size:           8
        .value_kind:     by_value
      - .offset:         48
        .size:           8
        .value_kind:     by_value
      - .offset:         56
        .size:           8
        .value_kind:     by_value
      - .offset:         64
        .size:           8
        .value_kind:     by_value
      - .offset:         72
        .size:           8
        .value_kind:     by_value
      - .offset:         80
        .size:           8
        .value_kind:     by_value
      - .offset:         88
        .size:           8
        .value_kind:     by_value
      - .offset:         96
        .size:           8
        .value_kind:     by_value
      - .offset:         104
        .size:           8
        .value_kind:     by_value
      - .offset:         112
        .size:           4
        .value_kind:     by_value
      - .offset:         116
        .size:           4
        .value_kind:     by_value
      - .offset:         120
        .size:           4
        .value_kind:     by_value
      - .offset:         124
        .size:           4
        .value_kind:     by_value
      - .offset:         128
        .size:           4
        .value_kind:     by_value
      - .offset:         132
        .size:           4
        .value_kind:     by_value
      - .offset:         136
        .size:           4
        .value_kind:     hidden_block_count_x
      - .offset:         140
        .size:           4
        .value_kind:     hidden_block_count_y
      - .offset:         144
        .size:           4
        .value_kind:     hidden_block_count_z
      - .offset:         148
        .size:           2
        .value_kind:     hidden_group_size_x
      - .offset:         150
        .size:           2
        .value_kind:     hidden_group_size_y
      - .offset:         152
        .size:           2
        .value_kind:     hidden_group_size_z
      - .offset:         154
        .size:           2
        .value_kind:     hidden_remainder_x
      - .offset:         156
        .size:           2
        .value_kind:     hidden_remainder_y
      - .offset:         158
        .size:           2
        .value_kind:     hidden_remainder_z
      - .offset:         176
        .size:           8
        .value_kind:     hidden_global_offset_x
      - .offset:         184
        .size:           8
        .value_kind:     hidden_global_offset_y
      - .offset:         192
        .size:           8
        .value_kind:     hidden_global_offset_z
      - .offset:         200
        .size:           2
        .value_kind:     hidden_grid_dims
    .group_segment_fixed_size: 0
    .kernarg_segment_align: 8
    .kernarg_segment_size: 392
    .language:       OpenCL C
    .language_version:
      - 2
      - 0
    .max_flat_workgroup_size: 1024
    .name:           _ZL13im2col_kernelIfEvPKfPT_lllllllllllliiiiii
    .private_segment_fixed_size: 0
    .sgpr_count:     51
    .sgpr_spill_count: 0
    .symbol:         _ZL13im2col_kernelIfEvPKfPT_lllllllllllliiiiii.kd
    .uniform_work_group_size: 1
    .uses_dynamic_stack: false
    .vgpr_count:     17
    .vgpr_spill_count: 0
    .wavefront_size: 32
    .workgroup_processor_mode: 1
  - .args:
      - .address_space:  global
        .offset:         0
        .size:           8
        .value_kind:     global_buffer
      - .address_space:  global
        .offset:         8
        .size:           8
        .value_kind:     global_buffer
      - .offset:         16
        .size:           8
        .value_kind:     by_value
      - .offset:         24
        .size:           8
        .value_kind:     by_value
      - .offset:         32
        .size:           8
        .value_kind:     by_value
      - .offset:         40
        .size:           8
        .value_kind:     by_value
      - .offset:         48
        .size:           8
        .value_kind:     by_value
      - .offset:         56
        .size:           8
        .value_kind:     by_value
      - .offset:         64
        .size:           8
        .value_kind:     by_value
      - .offset:         72
        .size:           8
        .value_kind:     by_value
      - .offset:         80
        .size:           8
        .value_kind:     by_value
      - .offset:         88
        .size:           8
        .value_kind:     by_value
      - .offset:         96
        .size:           8
        .value_kind:     by_value
      - .offset:         104
        .size:           8
        .value_kind:     by_value
      - .offset:         112
        .size:           8
        .value_kind:     by_value
      - .offset:         120
        .size:           8
        .value_kind:     by_value
      - .offset:         128
        .size:           8
        .value_kind:     by_value
      - .offset:         136
        .size:           8
        .value_kind:     by_value
      - .offset:         144
        .size:           8
        .value_kind:     by_value
      - .offset:         152
        .size:           8
        .value_kind:     by_value
      - .offset:         160
        .size:           8
        .value_kind:     by_value
      - .offset:         168
        .size:           8
        .value_kind:     by_value
      - .offset:         176
        .size:           8
        .value_kind:     by_value
      - .offset:         184
        .size:           8
        .value_kind:     by_value
      - .offset:         192
        .size:           8
        .value_kind:     by_value
      - .offset:         200
        .size:           8
        .value_kind:     by_value
      - .offset:         208
        .size:           8
        .value_kind:     by_value
      - .offset:         216
        .size:           8
        .value_kind:     by_value
      - .offset:         224
        .size:           8
        .value_kind:     by_value
      - .offset:         232
        .size:           8
        .value_kind:     by_value
      - .offset:         240
        .size:           8
        .value_kind:     by_value
      - .offset:         248
        .size:           4
        .value_kind:     by_value
      - .offset:         252
        .size:           4
        .value_kind:     by_value
      - .offset:         256
        .size:           4
        .value_kind:     by_value
      - .offset:         260
        .size:           4
        .value_kind:     by_value
      - .offset:         264
        .size:           4
        .value_kind:     by_value
      - .offset:         268
        .size:           4
        .value_kind:     by_value
      - .offset:         272
        .size:           4
        .value_kind:     by_value
      - .offset:         276
        .size:           4
        .value_kind:     by_value
      - .offset:         280
        .size:           4
        .value_kind:     by_value
      - .offset:         288
        .size:           4
        .value_kind:     hidden_block_count_x
      - .offset:         292
        .size:           4
        .value_kind:     hidden_block_count_y
      - .offset:         296
        .size:           4
        .value_kind:     hidden_block_count_z
      - .offset:         300
        .size:           2
        .value_kind:     hidden_group_size_x
      - .offset:         302
        .size:           2
        .value_kind:     hidden_group_size_y
      - .offset:         304
        .size:           2
        .value_kind:     hidden_group_size_z
      - .offset:         306
        .size:           2
        .value_kind:     hidden_remainder_x
      - .offset:         308
        .size:           2
        .value_kind:     hidden_remainder_y
      - .offset:         310
        .size:           2
        .value_kind:     hidden_remainder_z
      - .offset:         328
        .size:           8
        .value_kind:     hidden_global_offset_x
      - .offset:         336
        .size:           8
        .value_kind:     hidden_global_offset_y
      - .offset:         344
        .size:           8
        .value_kind:     hidden_global_offset_z
      - .offset:         352
        .size:           2
        .value_kind:     hidden_grid_dims
    .group_segment_fixed_size: 0
    .kernarg_segment_align: 8
    .kernarg_segment_size: 544
    .language:       OpenCL C
    .language_version:
      - 2
      - 0
    .max_flat_workgroup_size: 1024
    .name:           _ZL16im2col_3d_kernelI6__halfEvPKfPT_llllllllllllllllllllllllllllliiiiiiiii
    .private_segment_fixed_size: 0
    .sgpr_count:     77
    .sgpr_spill_count: 0
    .symbol:         _ZL16im2col_3d_kernelI6__halfEvPKfPT_llllllllllllllllllllllllllllliiiiiiiii.kd
    .uniform_work_group_size: 1
    .uses_dynamic_stack: false
    .vgpr_count:     31
    .vgpr_spill_count: 0
    .wavefront_size: 32
    .workgroup_processor_mode: 1
  - .args:
      - .address_space:  global
        .offset:         0
        .size:           8
        .value_kind:     global_buffer
      - .address_space:  global
        .offset:         8
        .size:           8
        .value_kind:     global_buffer
      - .offset:         16
        .size:           8
        .value_kind:     by_value
      - .offset:         24
        .size:           8
        .value_kind:     by_value
      - .offset:         32
        .size:           8
        .value_kind:     by_value
      - .offset:         40
        .size:           8
        .value_kind:     by_value
      - .offset:         48
        .size:           8
        .value_kind:     by_value
      - .offset:         56
        .size:           8
        .value_kind:     by_value
      - .offset:         64
        .size:           8
        .value_kind:     by_value
      - .offset:         72
        .size:           8
        .value_kind:     by_value
      - .offset:         80
        .size:           8
        .value_kind:     by_value
      - .offset:         88
        .size:           8
        .value_kind:     by_value
      - .offset:         96
        .size:           8
        .value_kind:     by_value
      - .offset:         104
        .size:           8
        .value_kind:     by_value
      - .offset:         112
        .size:           8
        .value_kind:     by_value
      - .offset:         120
        .size:           8
        .value_kind:     by_value
      - .offset:         128
        .size:           8
        .value_kind:     by_value
      - .offset:         136
        .size:           8
        .value_kind:     by_value
      - .offset:         144
        .size:           8
        .value_kind:     by_value
      - .offset:         152
        .size:           8
        .value_kind:     by_value
      - .offset:         160
        .size:           8
        .value_kind:     by_value
      - .offset:         168
        .size:           8
        .value_kind:     by_value
      - .offset:         176
        .size:           8
        .value_kind:     by_value
      - .offset:         184
        .size:           8
        .value_kind:     by_value
      - .offset:         192
        .size:           8
        .value_kind:     by_value
      - .offset:         200
        .size:           8
        .value_kind:     by_value
      - .offset:         208
        .size:           8
        .value_kind:     by_value
      - .offset:         216
        .size:           8
        .value_kind:     by_value
      - .offset:         224
        .size:           8
        .value_kind:     by_value
      - .offset:         232
        .size:           8
        .value_kind:     by_value
      - .offset:         240
        .size:           8
        .value_kind:     by_value
      - .offset:         248
        .size:           4
        .value_kind:     by_value
      - .offset:         252
        .size:           4
        .value_kind:     by_value
      - .offset:         256
        .size:           4
        .value_kind:     by_value
      - .offset:         260
        .size:           4
        .value_kind:     by_value
      - .offset:         264
        .size:           4
        .value_kind:     by_value
      - .offset:         268
        .size:           4
        .value_kind:     by_value
      - .offset:         272
        .size:           4
        .value_kind:     by_value
      - .offset:         276
        .size:           4
        .value_kind:     by_value
      - .offset:         280
        .size:           4
        .value_kind:     by_value
      - .offset:         288
        .size:           4
        .value_kind:     hidden_block_count_x
      - .offset:         292
        .size:           4
        .value_kind:     hidden_block_count_y
      - .offset:         296
        .size:           4
        .value_kind:     hidden_block_count_z
      - .offset:         300
        .size:           2
        .value_kind:     hidden_group_size_x
      - .offset:         302
        .size:           2
        .value_kind:     hidden_group_size_y
      - .offset:         304
        .size:           2
        .value_kind:     hidden_group_size_z
      - .offset:         306
        .size:           2
        .value_kind:     hidden_remainder_x
      - .offset:         308
        .size:           2
        .value_kind:     hidden_remainder_y
      - .offset:         310
        .size:           2
        .value_kind:     hidden_remainder_z
      - .offset:         328
        .size:           8
        .value_kind:     hidden_global_offset_x
      - .offset:         336
        .size:           8
        .value_kind:     hidden_global_offset_y
      - .offset:         344
        .size:           8
        .value_kind:     hidden_global_offset_z
      - .offset:         352
        .size:           2
        .value_kind:     hidden_grid_dims
    .group_segment_fixed_size: 0
    .kernarg_segment_align: 8
    .kernarg_segment_size: 544
    .language:       OpenCL C
    .language_version:
      - 2
      - 0
    .max_flat_workgroup_size: 1024
    .name:           _ZL16im2col_3d_kernelIfEvPKfPT_llllllllllllllllllllllllllllliiiiiiiii
    .private_segment_fixed_size: 0
    .sgpr_count:     75
    .sgpr_spill_count: 0
    .symbol:         _ZL16im2col_3d_kernelIfEvPKfPT_llllllllllllllllllllllllllllliiiiiiiii.kd
    .uniform_work_group_size: 1
    .uses_dynamic_stack: false
    .vgpr_count:     28
    .vgpr_spill_count: 0
    .wavefront_size: 32
    .workgroup_processor_mode: 1
amdhsa.target:   amdgcn-amd-amdhsa--gfx1030
amdhsa.version:
  - 1
  - 2
...

	.end_amdgpu_metadata
